;; amdgpu-corpus repo=ROCm/rocSOLVER kind=compiled arch=gfx1250 opt=O3
	.amdgcn_target "amdgcn-amd-amdhsa--gfx1250"
	.amdhsa_code_object_version 6
	.text
	.p2align	2                               ; -- Begin function __ockl_fprintf_append_string_n
	.type	__ockl_fprintf_append_string_n,@function
__ockl_fprintf_append_string_n:         ; @__ockl_fprintf_append_string_n
; %bb.0:
	s_wait_loadcnt_dscnt 0x0
	s_wait_kmcnt 0x0
	v_dual_mov_b32 v9, v3 :: v_dual_mov_b32 v8, v2
	v_or_b32_e32 v2, 2, v0
	v_cmp_eq_u32_e64 s0, 0, v6
	v_mbcnt_lo_u32_b32 v30, -1, 0
	s_mov_b32 s7, 0
	v_cndmask_b32_e64 v0, v2, v0, s0
	s_mov_b32 s0, exec_lo
	v_cmpx_ne_u64_e32 0, v[8:9]
	s_xor_b32 s6, exec_lo, s0
	s_cbranch_execz .LBB0_86
; %bb.1:
	s_load_b64 s[2:3], s[8:9], 0x50
	v_mov_b64_e32 v[12:13], 0x100000002
	v_dual_mov_b32 v11, 0 :: v_dual_bitop2_b32 v6, 2, v0 bitop3:0x40
	v_and_b32_e32 v0, -3, v0
	s_mov_b32 s10, 0
	s_branch .LBB0_3
.LBB0_2:                                ;   in Loop: Header=BB0_3 Depth=1
	s_or_b32 exec_lo, exec_lo, s11
	v_sub_nc_u64_e32 v[4:5], v[4:5], v[32:33]
	v_add_nc_u64_e32 v[8:9], v[8:9], v[32:33]
	s_delay_alu instid0(VALU_DEP_2) | instskip(SKIP_1) | instid1(SALU_CYCLE_1)
	v_cmp_eq_u64_e32 vcc_lo, 0, v[4:5]
	s_or_b32 s10, vcc_lo, s10
	s_and_not1_b32 exec_lo, exec_lo, s10
	s_cbranch_execz .LBB0_85
.LBB0_3:                                ; =>This Loop Header: Depth=1
                                        ;     Child Loop BB0_6 Depth 2
                                        ;     Child Loop BB0_14 Depth 2
	;; [unrolled: 1-line block ×11, first 2 shown]
	v_min_u64 v[32:33], v[4:5], 56
	s_delay_alu instid0(VALU_DEP_3)
	v_add_nc_u64_e32 v[16:17], 8, v[8:9]
	s_mov_b32 s0, exec_lo
	v_cmpx_gt_u64_e32 8, v[4:5]
	s_xor_b32 s4, exec_lo, s0
	s_cbranch_execz .LBB0_9
; %bb.4:                                ;   in Loop: Header=BB0_3 Depth=1
	s_wait_loadcnt 0x0
	v_mov_b64_e32 v[2:3], 0
	s_mov_b32 s5, exec_lo
	v_cmpx_ne_u64_e32 0, v[4:5]
	s_cbranch_execz .LBB0_8
; %bb.5:                                ;   in Loop: Header=BB0_3 Depth=1
	v_mov_b64_e32 v[2:3], 0
	v_mov_b64_e32 v[14:15], v[8:9]
	v_lshlrev_b32_e32 v10, 3, v32
	s_mov_b64 s[0:1], 0
	s_mov_b32 s11, 0
.LBB0_6:                                ;   Parent Loop BB0_3 Depth=1
                                        ; =>  This Inner Loop Header: Depth=2
	global_load_u8 v7, v[14:15], off
	v_mov_b32_e32 v17, s7
	s_wait_xcnt 0x0
	v_add_nc_u64_e32 v[14:15], 1, v[14:15]
	s_wait_loadcnt 0x0
	v_and_b32_e32 v16, 0xffff, v7
	s_delay_alu instid0(VALU_DEP_1) | instskip(SKIP_1) | instid1(SALU_CYCLE_1)
	v_lshlrev_b64_e32 v[16:17], s0, v[16:17]
	s_add_nc_u64 s[0:1], s[0:1], 8
	v_cmp_eq_u32_e32 vcc_lo, s0, v10
	s_delay_alu instid0(VALU_DEP_2) | instskip(NEXT) | instid1(VALU_DEP_3)
	v_or_b32_e32 v3, v17, v3
	v_or_b32_e32 v2, v16, v2
	s_or_b32 s11, vcc_lo, s11
	s_delay_alu instid0(SALU_CYCLE_1)
	s_and_not1_b32 exec_lo, exec_lo, s11
	s_cbranch_execnz .LBB0_6
; %bb.7:                                ;   in Loop: Header=BB0_3 Depth=1
	s_or_b32 exec_lo, exec_lo, s11
.LBB0_8:                                ;   in Loop: Header=BB0_3 Depth=1
	s_delay_alu instid0(SALU_CYCLE_1)
	s_or_b32 exec_lo, exec_lo, s5
	v_mov_b64_e32 v[16:17], v[8:9]
.LBB0_9:                                ;   in Loop: Header=BB0_3 Depth=1
	s_or_saveexec_b32 s0, s4
	v_mov_b32_e32 v7, 0
	s_xor_b32 exec_lo, exec_lo, s0
	s_cbranch_execz .LBB0_11
; %bb.10:                               ;   in Loop: Header=BB0_3 Depth=1
	s_wait_loadcnt 0x0
	global_load_b64 v[2:3], v[8:9], off
	v_add_nc_u32_e32 v7, -8, v32
.LBB0_11:                               ;   in Loop: Header=BB0_3 Depth=1
	s_wait_xcnt 0x0
	s_or_b32 exec_lo, exec_lo, s0
	v_add_nc_u64_e32 v[18:19], 8, v[16:17]
                                        ; implicit-def: $vgpr14_vgpr15
	s_mov_b32 s0, exec_lo
	v_cmpx_gt_u32_e32 8, v7
	s_xor_b32 s11, exec_lo, s0
	s_cbranch_execz .LBB0_17
; %bb.12:                               ;   in Loop: Header=BB0_3 Depth=1
	v_mov_b64_e32 v[14:15], 0
	s_mov_b32 s12, exec_lo
	v_cmpx_ne_u32_e32 0, v7
	s_cbranch_execz .LBB0_16
; %bb.13:                               ;   in Loop: Header=BB0_3 Depth=1
	v_mov_b64_e32 v[14:15], 0
	s_mov_b64 s[0:1], 0
	s_mov_b32 s13, 0
	s_mov_b64 s[4:5], 0
.LBB0_14:                               ;   Parent Loop BB0_3 Depth=1
                                        ; =>  This Inner Loop Header: Depth=2
	s_delay_alu instid0(SALU_CYCLE_1) | instskip(SKIP_1) | instid1(SALU_CYCLE_1)
	v_add_nc_u64_e32 v[18:19], s[4:5], v[16:17]
	s_add_nc_u64 s[4:5], s[4:5], 1
	v_cmp_eq_u32_e32 vcc_lo, s4, v7
	global_load_u8 v10, v[18:19], off
	s_wait_xcnt 0x0
	v_mov_b32_e32 v19, s7
	s_or_b32 s13, vcc_lo, s13
	s_wait_loadcnt 0x0
	v_and_b32_e32 v18, 0xffff, v10
	s_delay_alu instid0(VALU_DEP_1) | instskip(SKIP_1) | instid1(VALU_DEP_1)
	v_lshlrev_b64_e32 v[18:19], s0, v[18:19]
	s_add_nc_u64 s[0:1], s[0:1], 8
	v_or_b32_e32 v15, v19, v15
	s_delay_alu instid0(VALU_DEP_2)
	v_or_b32_e32 v14, v18, v14
	s_and_not1_b32 exec_lo, exec_lo, s13
	s_cbranch_execnz .LBB0_14
; %bb.15:                               ;   in Loop: Header=BB0_3 Depth=1
	s_or_b32 exec_lo, exec_lo, s13
.LBB0_16:                               ;   in Loop: Header=BB0_3 Depth=1
	s_delay_alu instid0(SALU_CYCLE_1)
	s_or_b32 exec_lo, exec_lo, s12
	v_mov_b64_e32 v[18:19], v[16:17]
                                        ; implicit-def: $vgpr7
.LBB0_17:                               ;   in Loop: Header=BB0_3 Depth=1
	s_or_saveexec_b32 s0, s11
	v_mov_b32_e32 v10, 0
	s_xor_b32 exec_lo, exec_lo, s0
	s_cbranch_execz .LBB0_19
; %bb.18:                               ;   in Loop: Header=BB0_3 Depth=1
	global_load_b64 v[14:15], v[16:17], off
	v_add_nc_u32_e32 v10, -8, v7
.LBB0_19:                               ;   in Loop: Header=BB0_3 Depth=1
	s_wait_xcnt 0x0
	s_or_b32 exec_lo, exec_lo, s0
	v_add_nc_u64_e32 v[20:21], 8, v[18:19]
	s_mov_b32 s0, exec_lo
	v_cmpx_gt_u32_e32 8, v10
	s_xor_b32 s11, exec_lo, s0
	s_cbranch_execz .LBB0_25
; %bb.20:                               ;   in Loop: Header=BB0_3 Depth=1
	v_mov_b64_e32 v[16:17], 0
	s_mov_b32 s12, exec_lo
	v_cmpx_ne_u32_e32 0, v10
	s_cbranch_execz .LBB0_24
; %bb.21:                               ;   in Loop: Header=BB0_3 Depth=1
	v_mov_b64_e32 v[16:17], 0
	s_mov_b64 s[0:1], 0
	s_mov_b32 s13, 0
	s_mov_b64 s[4:5], 0
.LBB0_22:                               ;   Parent Loop BB0_3 Depth=1
                                        ; =>  This Inner Loop Header: Depth=2
	s_delay_alu instid0(SALU_CYCLE_1) | instskip(SKIP_1) | instid1(SALU_CYCLE_1)
	v_add_nc_u64_e32 v[20:21], s[4:5], v[18:19]
	s_add_nc_u64 s[4:5], s[4:5], 1
	v_cmp_eq_u32_e32 vcc_lo, s4, v10
	global_load_u8 v7, v[20:21], off
	s_wait_xcnt 0x0
	v_mov_b32_e32 v21, s7
	s_or_b32 s13, vcc_lo, s13
	s_wait_loadcnt 0x0
	v_and_b32_e32 v20, 0xffff, v7
	s_delay_alu instid0(VALU_DEP_1) | instskip(SKIP_1) | instid1(VALU_DEP_1)
	v_lshlrev_b64_e32 v[20:21], s0, v[20:21]
	s_add_nc_u64 s[0:1], s[0:1], 8
	v_or_b32_e32 v17, v21, v17
	s_delay_alu instid0(VALU_DEP_2)
	v_or_b32_e32 v16, v20, v16
	s_and_not1_b32 exec_lo, exec_lo, s13
	s_cbranch_execnz .LBB0_22
; %bb.23:                               ;   in Loop: Header=BB0_3 Depth=1
	s_or_b32 exec_lo, exec_lo, s13
.LBB0_24:                               ;   in Loop: Header=BB0_3 Depth=1
	s_delay_alu instid0(SALU_CYCLE_1)
	s_or_b32 exec_lo, exec_lo, s12
	v_mov_b64_e32 v[20:21], v[18:19]
                                        ; implicit-def: $vgpr10
.LBB0_25:                               ;   in Loop: Header=BB0_3 Depth=1
	s_or_saveexec_b32 s0, s11
	v_mov_b32_e32 v7, 0
	s_xor_b32 exec_lo, exec_lo, s0
	s_cbranch_execz .LBB0_27
; %bb.26:                               ;   in Loop: Header=BB0_3 Depth=1
	global_load_b64 v[16:17], v[18:19], off
	v_add_nc_u32_e32 v7, -8, v10
.LBB0_27:                               ;   in Loop: Header=BB0_3 Depth=1
	s_wait_xcnt 0x0
	s_or_b32 exec_lo, exec_lo, s0
	v_add_nc_u64_e32 v[22:23], 8, v[20:21]
                                        ; implicit-def: $vgpr18_vgpr19
	s_mov_b32 s0, exec_lo
	v_cmpx_gt_u32_e32 8, v7
	s_xor_b32 s11, exec_lo, s0
	s_cbranch_execz .LBB0_33
; %bb.28:                               ;   in Loop: Header=BB0_3 Depth=1
	v_mov_b64_e32 v[18:19], 0
	s_mov_b32 s12, exec_lo
	v_cmpx_ne_u32_e32 0, v7
	s_cbranch_execz .LBB0_32
; %bb.29:                               ;   in Loop: Header=BB0_3 Depth=1
	v_mov_b64_e32 v[18:19], 0
	s_mov_b64 s[0:1], 0
	s_mov_b32 s13, 0
	s_mov_b64 s[4:5], 0
.LBB0_30:                               ;   Parent Loop BB0_3 Depth=1
                                        ; =>  This Inner Loop Header: Depth=2
	s_delay_alu instid0(SALU_CYCLE_1) | instskip(SKIP_1) | instid1(SALU_CYCLE_1)
	v_add_nc_u64_e32 v[22:23], s[4:5], v[20:21]
	s_add_nc_u64 s[4:5], s[4:5], 1
	v_cmp_eq_u32_e32 vcc_lo, s4, v7
	global_load_u8 v10, v[22:23], off
	s_wait_xcnt 0x0
	v_mov_b32_e32 v23, s7
	s_or_b32 s13, vcc_lo, s13
	s_wait_loadcnt 0x0
	v_and_b32_e32 v22, 0xffff, v10
	s_delay_alu instid0(VALU_DEP_1) | instskip(SKIP_1) | instid1(VALU_DEP_1)
	v_lshlrev_b64_e32 v[22:23], s0, v[22:23]
	s_add_nc_u64 s[0:1], s[0:1], 8
	v_or_b32_e32 v19, v23, v19
	s_delay_alu instid0(VALU_DEP_2)
	v_or_b32_e32 v18, v22, v18
	s_and_not1_b32 exec_lo, exec_lo, s13
	s_cbranch_execnz .LBB0_30
; %bb.31:                               ;   in Loop: Header=BB0_3 Depth=1
	s_or_b32 exec_lo, exec_lo, s13
.LBB0_32:                               ;   in Loop: Header=BB0_3 Depth=1
	s_delay_alu instid0(SALU_CYCLE_1)
	s_or_b32 exec_lo, exec_lo, s12
	v_mov_b64_e32 v[22:23], v[20:21]
                                        ; implicit-def: $vgpr7
.LBB0_33:                               ;   in Loop: Header=BB0_3 Depth=1
	s_or_saveexec_b32 s0, s11
	v_mov_b32_e32 v10, 0
	s_xor_b32 exec_lo, exec_lo, s0
	s_cbranch_execz .LBB0_35
; %bb.34:                               ;   in Loop: Header=BB0_3 Depth=1
	global_load_b64 v[18:19], v[20:21], off
	v_add_nc_u32_e32 v10, -8, v7
.LBB0_35:                               ;   in Loop: Header=BB0_3 Depth=1
	s_wait_xcnt 0x0
	s_or_b32 exec_lo, exec_lo, s0
	v_add_nc_u64_e32 v[24:25], 8, v[22:23]
	s_mov_b32 s0, exec_lo
	v_cmpx_gt_u32_e32 8, v10
	s_xor_b32 s11, exec_lo, s0
	s_cbranch_execz .LBB0_41
; %bb.36:                               ;   in Loop: Header=BB0_3 Depth=1
	v_mov_b64_e32 v[20:21], 0
	s_mov_b32 s12, exec_lo
	v_cmpx_ne_u32_e32 0, v10
	s_cbranch_execz .LBB0_40
; %bb.37:                               ;   in Loop: Header=BB0_3 Depth=1
	v_mov_b64_e32 v[20:21], 0
	s_mov_b64 s[0:1], 0
	s_mov_b32 s13, 0
	s_mov_b64 s[4:5], 0
.LBB0_38:                               ;   Parent Loop BB0_3 Depth=1
                                        ; =>  This Inner Loop Header: Depth=2
	s_delay_alu instid0(SALU_CYCLE_1) | instskip(SKIP_1) | instid1(SALU_CYCLE_1)
	v_add_nc_u64_e32 v[24:25], s[4:5], v[22:23]
	s_add_nc_u64 s[4:5], s[4:5], 1
	v_cmp_eq_u32_e32 vcc_lo, s4, v10
	global_load_u8 v7, v[24:25], off
	s_wait_xcnt 0x0
	v_mov_b32_e32 v25, s7
	s_or_b32 s13, vcc_lo, s13
	s_wait_loadcnt 0x0
	v_and_b32_e32 v24, 0xffff, v7
	s_delay_alu instid0(VALU_DEP_1) | instskip(SKIP_1) | instid1(VALU_DEP_1)
	v_lshlrev_b64_e32 v[24:25], s0, v[24:25]
	s_add_nc_u64 s[0:1], s[0:1], 8
	v_or_b32_e32 v21, v25, v21
	s_delay_alu instid0(VALU_DEP_2)
	v_or_b32_e32 v20, v24, v20
	s_and_not1_b32 exec_lo, exec_lo, s13
	s_cbranch_execnz .LBB0_38
; %bb.39:                               ;   in Loop: Header=BB0_3 Depth=1
	s_or_b32 exec_lo, exec_lo, s13
.LBB0_40:                               ;   in Loop: Header=BB0_3 Depth=1
	s_delay_alu instid0(SALU_CYCLE_1)
	s_or_b32 exec_lo, exec_lo, s12
	v_mov_b64_e32 v[24:25], v[22:23]
                                        ; implicit-def: $vgpr10
.LBB0_41:                               ;   in Loop: Header=BB0_3 Depth=1
	s_or_saveexec_b32 s0, s11
	v_mov_b32_e32 v7, 0
	s_xor_b32 exec_lo, exec_lo, s0
	s_cbranch_execz .LBB0_43
; %bb.42:                               ;   in Loop: Header=BB0_3 Depth=1
	global_load_b64 v[20:21], v[22:23], off
	v_add_nc_u32_e32 v7, -8, v10
.LBB0_43:                               ;   in Loop: Header=BB0_3 Depth=1
	s_wait_xcnt 0x0
	s_or_b32 exec_lo, exec_lo, s0
	v_add_nc_u64_e32 v[26:27], 8, v[24:25]
                                        ; implicit-def: $vgpr22_vgpr23
	s_mov_b32 s0, exec_lo
	v_cmpx_gt_u32_e32 8, v7
	s_xor_b32 s11, exec_lo, s0
	s_cbranch_execz .LBB0_49
; %bb.44:                               ;   in Loop: Header=BB0_3 Depth=1
	v_mov_b64_e32 v[22:23], 0
	s_mov_b32 s12, exec_lo
	v_cmpx_ne_u32_e32 0, v7
	s_cbranch_execz .LBB0_48
; %bb.45:                               ;   in Loop: Header=BB0_3 Depth=1
	v_mov_b64_e32 v[22:23], 0
	s_mov_b64 s[0:1], 0
	s_mov_b32 s13, 0
	s_mov_b64 s[4:5], 0
.LBB0_46:                               ;   Parent Loop BB0_3 Depth=1
                                        ; =>  This Inner Loop Header: Depth=2
	s_delay_alu instid0(SALU_CYCLE_1) | instskip(SKIP_1) | instid1(SALU_CYCLE_1)
	v_add_nc_u64_e32 v[26:27], s[4:5], v[24:25]
	s_add_nc_u64 s[4:5], s[4:5], 1
	v_cmp_eq_u32_e32 vcc_lo, s4, v7
	global_load_u8 v10, v[26:27], off
	s_wait_xcnt 0x0
	v_mov_b32_e32 v27, s7
	s_or_b32 s13, vcc_lo, s13
	s_wait_loadcnt 0x0
	v_and_b32_e32 v26, 0xffff, v10
	s_delay_alu instid0(VALU_DEP_1) | instskip(SKIP_1) | instid1(VALU_DEP_1)
	v_lshlrev_b64_e32 v[26:27], s0, v[26:27]
	s_add_nc_u64 s[0:1], s[0:1], 8
	v_or_b32_e32 v23, v27, v23
	s_delay_alu instid0(VALU_DEP_2)
	v_or_b32_e32 v22, v26, v22
	s_and_not1_b32 exec_lo, exec_lo, s13
	s_cbranch_execnz .LBB0_46
; %bb.47:                               ;   in Loop: Header=BB0_3 Depth=1
	s_or_b32 exec_lo, exec_lo, s13
.LBB0_48:                               ;   in Loop: Header=BB0_3 Depth=1
	s_delay_alu instid0(SALU_CYCLE_1)
	s_or_b32 exec_lo, exec_lo, s12
	v_mov_b64_e32 v[26:27], v[24:25]
                                        ; implicit-def: $vgpr7
.LBB0_49:                               ;   in Loop: Header=BB0_3 Depth=1
	s_or_saveexec_b32 s0, s11
	v_mov_b32_e32 v10, 0
	s_xor_b32 exec_lo, exec_lo, s0
	s_cbranch_execz .LBB0_51
; %bb.50:                               ;   in Loop: Header=BB0_3 Depth=1
	global_load_b64 v[22:23], v[24:25], off
	v_add_nc_u32_e32 v10, -8, v7
.LBB0_51:                               ;   in Loop: Header=BB0_3 Depth=1
	s_wait_xcnt 0x0
	s_or_b32 exec_lo, exec_lo, s0
	s_delay_alu instid0(SALU_CYCLE_1) | instskip(NEXT) | instid1(VALU_DEP_1)
	s_mov_b32 s0, exec_lo
	v_cmpx_gt_u32_e32 8, v10
	s_xor_b32 s4, exec_lo, s0
	s_cbranch_execz .LBB0_57
; %bb.52:                               ;   in Loop: Header=BB0_3 Depth=1
	v_mov_b64_e32 v[24:25], 0
	s_mov_b32 s5, exec_lo
	v_cmpx_ne_u32_e32 0, v10
	s_cbranch_execz .LBB0_56
; %bb.53:                               ;   in Loop: Header=BB0_3 Depth=1
	v_mov_b64_e32 v[24:25], 0
	s_mov_b64 s[0:1], 0
	s_mov_b32 s11, 0
.LBB0_54:                               ;   Parent Loop BB0_3 Depth=1
                                        ; =>  This Inner Loop Header: Depth=2
	global_load_u8 v7, v[26:27], off
	v_dual_mov_b32 v29, s7 :: v_dual_add_nc_u32 v10, -1, v10
	s_wait_xcnt 0x0
	v_add_nc_u64_e32 v[26:27], 1, v[26:27]
	s_delay_alu instid0(VALU_DEP_2) | instskip(SKIP_3) | instid1(VALU_DEP_1)
	v_cmp_eq_u32_e32 vcc_lo, 0, v10
	s_or_b32 s11, vcc_lo, s11
	s_wait_loadcnt 0x0
	v_and_b32_e32 v28, 0xffff, v7
	v_lshlrev_b64_e32 v[28:29], s0, v[28:29]
	s_add_nc_u64 s[0:1], s[0:1], 8
	s_delay_alu instid0(VALU_DEP_1) | instskip(NEXT) | instid1(VALU_DEP_2)
	v_or_b32_e32 v25, v29, v25
	v_or_b32_e32 v24, v28, v24
	s_and_not1_b32 exec_lo, exec_lo, s11
	s_cbranch_execnz .LBB0_54
; %bb.55:                               ;   in Loop: Header=BB0_3 Depth=1
	s_or_b32 exec_lo, exec_lo, s11
.LBB0_56:                               ;   in Loop: Header=BB0_3 Depth=1
	s_delay_alu instid0(SALU_CYCLE_1)
	s_or_b32 exec_lo, exec_lo, s5
                                        ; implicit-def: $vgpr26_vgpr27
.LBB0_57:                               ;   in Loop: Header=BB0_3 Depth=1
	s_and_not1_saveexec_b32 s0, s4
	s_cbranch_execz .LBB0_59
; %bb.58:                               ;   in Loop: Header=BB0_3 Depth=1
	global_load_b64 v[24:25], v[26:27], off
.LBB0_59:                               ;   in Loop: Header=BB0_3 Depth=1
	s_wait_xcnt 0x0
	s_or_b32 exec_lo, exec_lo, s0
	v_readfirstlane_b32 s0, v30
	v_mov_b64_e32 v[34:35], 0
	s_delay_alu instid0(VALU_DEP_2)
	v_cmp_eq_u32_e64 s0, s0, v30
	s_and_saveexec_b32 s1, s0
	s_cbranch_execz .LBB0_65
; %bb.60:                               ;   in Loop: Header=BB0_3 Depth=1
	s_wait_kmcnt 0x0
	global_load_b64 v[28:29], v11, s[2:3] offset:24 scope:SCOPE_SYS
	s_wait_loadcnt 0x0
	global_inv scope:SCOPE_SYS
	s_clause 0x1
	global_load_b64 v[26:27], v11, s[2:3] offset:40
	global_load_b64 v[34:35], v11, s[2:3]
	s_mov_b32 s4, exec_lo
	s_wait_loadcnt 0x1
	v_and_b32_e32 v26, v26, v28
	v_and_b32_e32 v27, v27, v29
	s_delay_alu instid0(VALU_DEP_1) | instskip(SKIP_1) | instid1(VALU_DEP_1)
	v_mul_u64_e32 v[26:27], 24, v[26:27]
	s_wait_loadcnt 0x0
	v_add_nc_u64_e32 v[26:27], v[34:35], v[26:27]
	global_load_b64 v[26:27], v[26:27], off scope:SCOPE_SYS
	s_wait_xcnt 0x0
	s_wait_loadcnt 0x0
	global_atomic_cmpswap_b64 v[34:35], v11, v[26:29], s[2:3] offset:24 th:TH_ATOMIC_RETURN scope:SCOPE_SYS
	s_wait_loadcnt 0x0
	global_inv scope:SCOPE_SYS
	s_wait_xcnt 0x0
	v_cmpx_ne_u64_e64 v[34:35], v[28:29]
	s_cbranch_execz .LBB0_64
; %bb.61:                               ;   in Loop: Header=BB0_3 Depth=1
	s_mov_b32 s5, 0
.LBB0_62:                               ;   Parent Loop BB0_3 Depth=1
                                        ; =>  This Inner Loop Header: Depth=2
	s_sleep 1
	s_clause 0x1
	global_load_b64 v[26:27], v11, s[2:3] offset:40
	global_load_b64 v[36:37], v11, s[2:3]
	v_mov_b64_e32 v[28:29], v[34:35]
	s_wait_loadcnt 0x1
	s_delay_alu instid0(VALU_DEP_1) | instskip(SKIP_1) | instid1(VALU_DEP_1)
	v_and_b32_e32 v7, v26, v28
	s_wait_loadcnt 0x0
	v_mad_nc_u64_u32 v[34:35], v7, 24, v[36:37]
	s_delay_alu instid0(VALU_DEP_3) | instskip(NEXT) | instid1(VALU_DEP_1)
	v_and_b32_e32 v7, v27, v29
	v_mad_u32 v35, v7, 24, v35
	global_load_b64 v[26:27], v[34:35], off scope:SCOPE_SYS
	s_wait_xcnt 0x0
	s_wait_loadcnt 0x0
	global_atomic_cmpswap_b64 v[34:35], v11, v[26:29], s[2:3] offset:24 th:TH_ATOMIC_RETURN scope:SCOPE_SYS
	s_wait_loadcnt 0x0
	global_inv scope:SCOPE_SYS
	v_cmp_eq_u64_e32 vcc_lo, v[34:35], v[28:29]
	s_or_b32 s5, vcc_lo, s5
	s_wait_xcnt 0x0
	s_and_not1_b32 exec_lo, exec_lo, s5
	s_cbranch_execnz .LBB0_62
; %bb.63:                               ;   in Loop: Header=BB0_3 Depth=1
	s_or_b32 exec_lo, exec_lo, s5
.LBB0_64:                               ;   in Loop: Header=BB0_3 Depth=1
	s_delay_alu instid0(SALU_CYCLE_1)
	s_or_b32 exec_lo, exec_lo, s4
.LBB0_65:                               ;   in Loop: Header=BB0_3 Depth=1
	s_delay_alu instid0(SALU_CYCLE_1)
	s_or_b32 exec_lo, exec_lo, s1
	s_wait_kmcnt 0x0
	s_clause 0x1
	global_load_b64 v[36:37], v11, s[2:3] offset:40
	global_load_b128 v[26:29], v11, s[2:3]
	v_readfirstlane_b32 s4, v34
	v_readfirstlane_b32 s5, v35
	s_mov_b32 s1, exec_lo
	s_wait_loadcnt 0x1
	v_and_b32_e32 v36, s4, v36
	v_and_b32_e32 v37, s5, v37
	s_delay_alu instid0(VALU_DEP_1) | instskip(SKIP_1) | instid1(VALU_DEP_1)
	v_mul_u64_e32 v[34:35], 24, v[36:37]
	s_wait_loadcnt 0x0
	v_add_nc_u64_e32 v[34:35], v[26:27], v[34:35]
	s_wait_xcnt 0x0
	s_and_saveexec_b32 s11, s0
	s_cbranch_execz .LBB0_67
; %bb.66:                               ;   in Loop: Header=BB0_3 Depth=1
	v_mov_b32_e32 v10, s1
	global_store_b128 v[34:35], v[10:13], off offset:8
.LBB0_67:                               ;   in Loop: Header=BB0_3 Depth=1
	s_wait_xcnt 0x0
	s_or_b32 exec_lo, exec_lo, s11
	v_cmp_gt_u64_e32 vcc_lo, 57, v[4:5]
	v_lshlrev_b64_e32 v[36:37], 12, v[36:37]
	v_and_b32_e32 v0, 0xffffff1f, v0
	v_lshl_add_u32 v31, v32, 2, 28
	v_lshlrev_b32_e32 v10, 6, v30
	v_cndmask_b32_e32 v7, 0, v6, vcc_lo
	v_add_nc_u64_e32 v[28:29], v[28:29], v[36:37]
	s_delay_alu instid0(VALU_DEP_2) | instskip(NEXT) | instid1(VALU_DEP_2)
	v_or_b32_e32 v0, v0, v7
	v_readfirstlane_b32 s12, v28
	s_delay_alu instid0(VALU_DEP_3) | instskip(NEXT) | instid1(VALU_DEP_3)
	v_readfirstlane_b32 s13, v29
	v_and_or_b32 v0, 0x1e0, v31, v0
	s_clause 0x3
	global_store_b128 v10, v[0:3], s[12:13]
	global_store_b128 v10, v[14:17], s[12:13] offset:16
	global_store_b128 v10, v[18:21], s[12:13] offset:32
	;; [unrolled: 1-line block ×3, first 2 shown]
	s_wait_xcnt 0x0
	s_and_saveexec_b32 s1, s0
	s_cbranch_execz .LBB0_75
; %bb.68:                               ;   in Loop: Header=BB0_3 Depth=1
	s_clause 0x1
	global_load_b64 v[18:19], v11, s[2:3] offset:32 scope:SCOPE_SYS
	global_load_b64 v[0:1], v11, s[2:3] offset:40
	s_mov_b32 s11, exec_lo
	v_dual_mov_b32 v16, s4 :: v_dual_mov_b32 v17, s5
	s_wait_loadcnt 0x0
	v_and_b32_e32 v1, s5, v1
	v_and_b32_e32 v0, s4, v0
	s_delay_alu instid0(VALU_DEP_1) | instskip(NEXT) | instid1(VALU_DEP_1)
	v_mul_u64_e32 v[0:1], 24, v[0:1]
	v_add_nc_u64_e32 v[14:15], v[26:27], v[0:1]
	global_store_b64 v[14:15], v[18:19], off
	global_wb scope:SCOPE_SYS
	s_wait_storecnt 0x0
	s_wait_xcnt 0x0
	global_atomic_cmpswap_b64 v[2:3], v11, v[16:19], s[2:3] offset:32 th:TH_ATOMIC_RETURN scope:SCOPE_SYS
	s_wait_loadcnt 0x0
	v_cmpx_ne_u64_e64 v[2:3], v[18:19]
	s_cbranch_execz .LBB0_71
; %bb.69:                               ;   in Loop: Header=BB0_3 Depth=1
	s_mov_b32 s12, 0
.LBB0_70:                               ;   Parent Loop BB0_3 Depth=1
                                        ; =>  This Inner Loop Header: Depth=2
	v_dual_mov_b32 v0, s4 :: v_dual_mov_b32 v1, s5
	s_sleep 1
	global_store_b64 v[14:15], v[2:3], off
	global_wb scope:SCOPE_SYS
	s_wait_storecnt 0x0
	s_wait_xcnt 0x0
	global_atomic_cmpswap_b64 v[0:1], v11, v[0:3], s[2:3] offset:32 th:TH_ATOMIC_RETURN scope:SCOPE_SYS
	s_wait_loadcnt 0x0
	v_cmp_eq_u64_e32 vcc_lo, v[0:1], v[2:3]
	v_mov_b64_e32 v[2:3], v[0:1]
	s_or_b32 s12, vcc_lo, s12
	s_delay_alu instid0(SALU_CYCLE_1)
	s_and_not1_b32 exec_lo, exec_lo, s12
	s_cbranch_execnz .LBB0_70
.LBB0_71:                               ;   in Loop: Header=BB0_3 Depth=1
	s_or_b32 exec_lo, exec_lo, s11
	global_load_b64 v[0:1], v11, s[2:3] offset:16
	s_mov_b32 s12, exec_lo
	s_mov_b32 s11, exec_lo
	v_mbcnt_lo_u32_b32 v2, s12, 0
	s_wait_xcnt 0x0
	s_delay_alu instid0(VALU_DEP_1)
	v_cmpx_eq_u32_e32 0, v2
	s_cbranch_execz .LBB0_73
; %bb.72:                               ;   in Loop: Header=BB0_3 Depth=1
	s_bcnt1_i32_b32 s12, s12
	s_delay_alu instid0(SALU_CYCLE_1)
	v_dual_mov_b32 v3, v11 :: v_dual_mov_b32 v2, s12
	global_wb scope:SCOPE_SYS
	s_wait_loadcnt 0x0
	s_wait_storecnt 0x0
	global_atomic_add_u64 v[0:1], v[2:3], off offset:8 scope:SCOPE_SYS
.LBB0_73:                               ;   in Loop: Header=BB0_3 Depth=1
	s_wait_xcnt 0x0
	s_or_b32 exec_lo, exec_lo, s11
	s_wait_loadcnt 0x0
	global_load_b64 v[2:3], v[0:1], off offset:16
	s_wait_loadcnt 0x0
	v_cmp_eq_u64_e32 vcc_lo, 0, v[2:3]
	s_cbranch_vccnz .LBB0_75
; %bb.74:                               ;   in Loop: Header=BB0_3 Depth=1
	global_load_b32 v0, v[0:1], off offset:24
	s_wait_xcnt 0x0
	v_mov_b32_e32 v1, v11
	s_wait_loadcnt 0x0
	v_readfirstlane_b32 s11, v0
	global_wb scope:SCOPE_SYS
	s_wait_storecnt 0x0
	global_store_b64 v[2:3], v[0:1], off scope:SCOPE_SYS
	s_and_b32 m0, s11, 0xffffff
	s_sendmsg sendmsg(MSG_INTERRUPT)
.LBB0_75:                               ;   in Loop: Header=BB0_3 Depth=1
	s_wait_xcnt 0x0
	s_or_b32 exec_lo, exec_lo, s1
	v_add_nc_u64_e32 v[0:1], v[28:29], v[10:11]
	s_branch .LBB0_79
.LBB0_76:                               ;   in Loop: Header=BB0_79 Depth=2
	s_wait_xcnt 0x0
	s_or_b32 exec_lo, exec_lo, s1
	s_delay_alu instid0(VALU_DEP_1)
	v_readfirstlane_b32 s1, v2
	s_cmp_eq_u32 s1, 0
	s_cbranch_scc1 .LBB0_78
; %bb.77:                               ;   in Loop: Header=BB0_79 Depth=2
	s_sleep 1
	s_cbranch_execnz .LBB0_79
	s_branch .LBB0_81
.LBB0_78:                               ;   in Loop: Header=BB0_3 Depth=1
	s_branch .LBB0_81
.LBB0_79:                               ;   Parent Loop BB0_3 Depth=1
                                        ; =>  This Inner Loop Header: Depth=2
	v_mov_b32_e32 v2, 1
	s_and_saveexec_b32 s1, s0
	s_cbranch_execz .LBB0_76
; %bb.80:                               ;   in Loop: Header=BB0_79 Depth=2
	global_load_b32 v2, v[34:35], off offset:20 scope:SCOPE_SYS
	s_wait_loadcnt 0x0
	global_inv scope:SCOPE_SYS
	v_and_b32_e32 v2, 1, v2
	s_branch .LBB0_76
.LBB0_81:                               ;   in Loop: Header=BB0_3 Depth=1
	global_load_b128 v[0:3], v[0:1], off
	s_wait_xcnt 0x0
	s_and_saveexec_b32 s11, s0
	s_cbranch_execz .LBB0_2
; %bb.82:                               ;   in Loop: Header=BB0_3 Depth=1
	s_wait_loadcnt 0x0
	s_clause 0x2
	global_load_b64 v[2:3], v11, s[2:3] offset:40
	global_load_b64 v[18:19], v11, s[2:3] offset:24 scope:SCOPE_SYS
	global_load_b64 v[14:15], v11, s[2:3]
	s_wait_loadcnt 0x2
	v_readfirstlane_b32 s12, v2
	v_readfirstlane_b32 s13, v3
	s_add_nc_u64 s[0:1], s[12:13], 1
	s_delay_alu instid0(SALU_CYCLE_1) | instskip(NEXT) | instid1(SALU_CYCLE_1)
	s_add_nc_u64 s[4:5], s[0:1], s[4:5]
	s_cmp_eq_u64 s[4:5], 0
	s_cselect_b32 s1, s1, s5
	s_cselect_b32 s0, s0, s4
	s_delay_alu instid0(SALU_CYCLE_1) | instskip(SKIP_1) | instid1(SALU_CYCLE_1)
	v_dual_mov_b32 v17, s1 :: v_dual_mov_b32 v16, s0
	s_and_b64 s[4:5], s[0:1], s[12:13]
	s_mul_u64 s[4:5], s[4:5], 24
	s_wait_loadcnt 0x0
	v_add_nc_u64_e32 v[2:3], s[4:5], v[14:15]
	global_store_b64 v[2:3], v[18:19], off
	global_wb scope:SCOPE_SYS
	s_wait_storecnt 0x0
	s_wait_xcnt 0x0
	global_atomic_cmpswap_b64 v[16:17], v11, v[16:19], s[2:3] offset:24 th:TH_ATOMIC_RETURN scope:SCOPE_SYS
	s_wait_loadcnt 0x0
	v_cmp_ne_u64_e32 vcc_lo, v[16:17], v[18:19]
	s_and_b32 exec_lo, exec_lo, vcc_lo
	s_cbranch_execz .LBB0_2
; %bb.83:                               ;   in Loop: Header=BB0_3 Depth=1
	s_mov_b32 s4, 0
.LBB0_84:                               ;   Parent Loop BB0_3 Depth=1
                                        ; =>  This Inner Loop Header: Depth=2
	v_dual_mov_b32 v14, s0 :: v_dual_mov_b32 v15, s1
	s_sleep 1
	global_store_b64 v[2:3], v[16:17], off
	global_wb scope:SCOPE_SYS
	s_wait_storecnt 0x0
	s_wait_xcnt 0x0
	global_atomic_cmpswap_b64 v[14:15], v11, v[14:17], s[2:3] offset:24 th:TH_ATOMIC_RETURN scope:SCOPE_SYS
	s_wait_loadcnt 0x0
	v_cmp_eq_u64_e32 vcc_lo, v[14:15], v[16:17]
	v_mov_b64_e32 v[16:17], v[14:15]
	s_or_b32 s4, vcc_lo, s4
	s_delay_alu instid0(SALU_CYCLE_1)
	s_and_not1_b32 exec_lo, exec_lo, s4
	s_cbranch_execnz .LBB0_84
	s_branch .LBB0_2
.LBB0_85:
	s_or_b32 exec_lo, exec_lo, s10
                                        ; implicit-def: $vgpr0
                                        ; implicit-def: $vgpr30
                                        ; implicit-def: $vgpr1
.LBB0_86:
	s_and_not1_saveexec_b32 s6, s6
	s_cbranch_execz .LBB0_108
; %bb.87:
	s_load_b64 s[2:3], s[8:9], 0x50
	v_readfirstlane_b32 s0, v30
	v_mov_b64_e32 v[8:9], 0
	s_delay_alu instid0(VALU_DEP_2)
	v_cmp_eq_u32_e64 s0, s0, v30
	s_and_saveexec_b32 s1, s0
	s_cbranch_execz .LBB0_93
; %bb.88:
	s_wait_loadcnt 0x0
	v_mov_b32_e32 v2, 0
	s_mov_b32 s4, exec_lo
	s_wait_kmcnt 0x0
	global_load_b64 v[6:7], v2, s[2:3] offset:24 scope:SCOPE_SYS
	s_wait_loadcnt 0x0
	global_inv scope:SCOPE_SYS
	s_clause 0x1
	global_load_b64 v[4:5], v2, s[2:3] offset:40
	global_load_b64 v[8:9], v2, s[2:3]
	s_wait_loadcnt 0x1
	v_and_b32_e32 v4, v4, v6
	v_and_b32_e32 v5, v5, v7
	s_delay_alu instid0(VALU_DEP_1) | instskip(SKIP_1) | instid1(VALU_DEP_1)
	v_mul_u64_e32 v[4:5], 24, v[4:5]
	s_wait_loadcnt 0x0
	v_add_nc_u64_e32 v[4:5], v[8:9], v[4:5]
	global_load_b64 v[4:5], v[4:5], off scope:SCOPE_SYS
	s_wait_xcnt 0x0
	s_wait_loadcnt 0x0
	global_atomic_cmpswap_b64 v[8:9], v2, v[4:7], s[2:3] offset:24 th:TH_ATOMIC_RETURN scope:SCOPE_SYS
	s_wait_loadcnt 0x0
	global_inv scope:SCOPE_SYS
	s_wait_xcnt 0x0
	v_cmpx_ne_u64_e64 v[8:9], v[6:7]
	s_cbranch_execz .LBB0_92
; %bb.89:
	s_mov_b32 s5, 0
.LBB0_90:                               ; =>This Inner Loop Header: Depth=1
	s_sleep 1
	s_clause 0x1
	global_load_b64 v[4:5], v2, s[2:3] offset:40
	global_load_b64 v[10:11], v2, s[2:3]
	v_mov_b64_e32 v[6:7], v[8:9]
	s_wait_loadcnt 0x1
	s_delay_alu instid0(VALU_DEP_1) | instskip(SKIP_1) | instid1(VALU_DEP_1)
	v_and_b32_e32 v3, v4, v6
	s_wait_loadcnt 0x0
	v_mad_nc_u64_u32 v[8:9], v3, 24, v[10:11]
	s_delay_alu instid0(VALU_DEP_3) | instskip(NEXT) | instid1(VALU_DEP_1)
	v_and_b32_e32 v3, v5, v7
	v_mad_u32 v9, v3, 24, v9
	global_load_b64 v[4:5], v[8:9], off scope:SCOPE_SYS
	s_wait_xcnt 0x0
	s_wait_loadcnt 0x0
	global_atomic_cmpswap_b64 v[8:9], v2, v[4:7], s[2:3] offset:24 th:TH_ATOMIC_RETURN scope:SCOPE_SYS
	s_wait_loadcnt 0x0
	global_inv scope:SCOPE_SYS
	v_cmp_eq_u64_e32 vcc_lo, v[8:9], v[6:7]
	s_or_b32 s5, vcc_lo, s5
	s_wait_xcnt 0x0
	s_and_not1_b32 exec_lo, exec_lo, s5
	s_cbranch_execnz .LBB0_90
; %bb.91:
	s_or_b32 exec_lo, exec_lo, s5
.LBB0_92:
	s_delay_alu instid0(SALU_CYCLE_1)
	s_or_b32 exec_lo, exec_lo, s4
.LBB0_93:
	s_delay_alu instid0(SALU_CYCLE_1)
	s_or_b32 exec_lo, exec_lo, s1
	v_readfirstlane_b32 s4, v8
	s_wait_loadcnt 0x0
	v_mov_b32_e32 v2, 0
	v_readfirstlane_b32 s5, v9
	s_mov_b32 s1, exec_lo
	s_wait_kmcnt 0x0
	s_clause 0x1
	global_load_b64 v[10:11], v2, s[2:3] offset:40
	global_load_b128 v[4:7], v2, s[2:3]
	s_wait_loadcnt 0x1
	v_and_b32_e32 v10, s4, v10
	v_and_b32_e32 v11, s5, v11
	s_delay_alu instid0(VALU_DEP_1) | instskip(SKIP_1) | instid1(VALU_DEP_1)
	v_mul_u64_e32 v[8:9], 24, v[10:11]
	s_wait_loadcnt 0x0
	v_add_nc_u64_e32 v[8:9], v[4:5], v[8:9]
	s_wait_xcnt 0x0
	s_and_saveexec_b32 s7, s0
	s_cbranch_execz .LBB0_95
; %bb.94:
	v_mov_b64_e32 v[14:15], 0x100000002
	v_dual_mov_b32 v12, s1 :: v_dual_mov_b32 v13, v2
	global_store_b128 v[8:9], v[12:15], off offset:8
.LBB0_95:
	s_wait_xcnt 0x0
	s_or_b32 exec_lo, exec_lo, s7
	v_lshlrev_b64_e32 v[10:11], 12, v[10:11]
	s_mov_b32 s8, 0
	v_and_or_b32 v0, 0xffffff1f, v0, 32
	s_mov_b32 s10, s8
	s_mov_b32 s11, s8
	s_mov_b32 s9, s8
	v_dual_mov_b32 v3, v2 :: v_dual_lshlrev_b32 v14, 6, v30
	v_add_nc_u64_e32 v[6:7], v[6:7], v[10:11]
	v_mov_b64_e32 v[12:13], s[10:11]
	v_mov_b64_e32 v[10:11], s[8:9]
	s_delay_alu instid0(VALU_DEP_3) | instskip(NEXT) | instid1(VALU_DEP_4)
	v_readfirstlane_b32 s12, v6
	v_readfirstlane_b32 s13, v7
	s_clause 0x3
	global_store_b128 v14, v[0:3], s[12:13]
	global_store_b128 v14, v[10:13], s[12:13] offset:16
	global_store_b128 v14, v[10:13], s[12:13] offset:32
	;; [unrolled: 1-line block ×3, first 2 shown]
	s_wait_xcnt 0x0
	s_and_saveexec_b32 s1, s0
	s_cbranch_execz .LBB0_102
; %bb.96:
	v_dual_mov_b32 v6, 0 :: v_dual_mov_b32 v11, s5
	s_mov_b32 s7, exec_lo
	s_clause 0x1
	global_load_b64 v[12:13], v6, s[2:3] offset:32 scope:SCOPE_SYS
	global_load_b64 v[0:1], v6, s[2:3] offset:40
	s_wait_loadcnt 0x0
	v_dual_mov_b32 v10, s4 :: v_dual_bitop2_b32 v1, s5, v1 bitop3:0x40
	v_and_b32_e32 v0, s4, v0
	s_delay_alu instid0(VALU_DEP_1) | instskip(NEXT) | instid1(VALU_DEP_1)
	v_mul_u64_e32 v[0:1], 24, v[0:1]
	v_add_nc_u64_e32 v[4:5], v[4:5], v[0:1]
	global_store_b64 v[4:5], v[12:13], off
	global_wb scope:SCOPE_SYS
	s_wait_storecnt 0x0
	s_wait_xcnt 0x0
	global_atomic_cmpswap_b64 v[2:3], v6, v[10:13], s[2:3] offset:32 th:TH_ATOMIC_RETURN scope:SCOPE_SYS
	s_wait_loadcnt 0x0
	v_cmpx_ne_u64_e64 v[2:3], v[12:13]
	s_cbranch_execz .LBB0_98
.LBB0_97:                               ; =>This Inner Loop Header: Depth=1
	v_dual_mov_b32 v0, s4 :: v_dual_mov_b32 v1, s5
	s_sleep 1
	global_store_b64 v[4:5], v[2:3], off
	global_wb scope:SCOPE_SYS
	s_wait_storecnt 0x0
	s_wait_xcnt 0x0
	global_atomic_cmpswap_b64 v[0:1], v6, v[0:3], s[2:3] offset:32 th:TH_ATOMIC_RETURN scope:SCOPE_SYS
	s_wait_loadcnt 0x0
	v_cmp_eq_u64_e32 vcc_lo, v[0:1], v[2:3]
	v_mov_b64_e32 v[2:3], v[0:1]
	s_or_b32 s8, vcc_lo, s8
	s_delay_alu instid0(SALU_CYCLE_1)
	s_and_not1_b32 exec_lo, exec_lo, s8
	s_cbranch_execnz .LBB0_97
.LBB0_98:
	s_or_b32 exec_lo, exec_lo, s7
	v_mov_b32_e32 v3, 0
	s_mov_b32 s8, exec_lo
	s_mov_b32 s7, exec_lo
	v_mbcnt_lo_u32_b32 v2, s8, 0
	global_load_b64 v[0:1], v3, s[2:3] offset:16
	s_wait_xcnt 0x0
	v_cmpx_eq_u32_e32 0, v2
	s_cbranch_execz .LBB0_100
; %bb.99:
	s_bcnt1_i32_b32 s8, s8
	s_delay_alu instid0(SALU_CYCLE_1)
	v_mov_b32_e32 v2, s8
	global_wb scope:SCOPE_SYS
	s_wait_loadcnt 0x0
	s_wait_storecnt 0x0
	global_atomic_add_u64 v[0:1], v[2:3], off offset:8 scope:SCOPE_SYS
.LBB0_100:
	s_wait_xcnt 0x0
	s_or_b32 exec_lo, exec_lo, s7
	s_wait_loadcnt 0x0
	global_load_b64 v[2:3], v[0:1], off offset:16
	s_wait_loadcnt 0x0
	v_cmp_eq_u64_e32 vcc_lo, 0, v[2:3]
	s_cbranch_vccnz .LBB0_102
; %bb.101:
	global_load_b32 v0, v[0:1], off offset:24
	s_wait_xcnt 0x0
	v_mov_b32_e32 v1, 0
	s_wait_loadcnt 0x0
	v_readfirstlane_b32 s7, v0
	global_wb scope:SCOPE_SYS
	s_wait_storecnt 0x0
	global_store_b64 v[2:3], v[0:1], off scope:SCOPE_SYS
	s_and_b32 m0, s7, 0xffffff
	s_sendmsg sendmsg(MSG_INTERRUPT)
.LBB0_102:
	s_wait_xcnt 0x0
	s_or_b32 exec_lo, exec_lo, s1
	s_branch .LBB0_106
.LBB0_103:                              ;   in Loop: Header=BB0_106 Depth=1
	s_wait_xcnt 0x0
	s_or_b32 exec_lo, exec_lo, s1
	s_delay_alu instid0(VALU_DEP_1)
	v_readfirstlane_b32 s1, v0
	s_cmp_eq_u32 s1, 0
	s_cbranch_scc1 .LBB0_105
; %bb.104:                              ;   in Loop: Header=BB0_106 Depth=1
	s_sleep 1
	s_cbranch_execnz .LBB0_106
	s_branch .LBB0_109
.LBB0_105:
	s_branch .LBB0_109
.LBB0_106:                              ; =>This Inner Loop Header: Depth=1
	v_mov_b32_e32 v0, 1
	s_and_saveexec_b32 s1, s0
	s_cbranch_execz .LBB0_103
; %bb.107:                              ;   in Loop: Header=BB0_106 Depth=1
	global_load_b32 v0, v[8:9], off offset:20 scope:SCOPE_SYS
	s_wait_loadcnt 0x0
	global_inv scope:SCOPE_SYS
	v_and_b32_e32 v0, 1, v0
	s_branch .LBB0_103
.LBB0_108:
	s_or_b32 exec_lo, exec_lo, s6
	s_wait_loadcnt 0x0
	s_wait_kmcnt 0x0
	s_set_pc_i64 s[30:31]
.LBB0_109:
	s_and_saveexec_b32 s7, s0
	s_cbranch_execz .LBB0_113
; %bb.110:
	v_mov_b32_e32 v6, 0
	s_clause 0x2
	global_load_b64 v[0:1], v6, s[2:3] offset:40
	global_load_b64 v[10:11], v6, s[2:3] offset:24 scope:SCOPE_SYS
	global_load_b64 v[2:3], v6, s[2:3]
	s_wait_loadcnt 0x2
	v_readfirstlane_b32 s8, v0
	v_readfirstlane_b32 s9, v1
	s_add_nc_u64 s[0:1], s[8:9], 1
	s_delay_alu instid0(SALU_CYCLE_1) | instskip(NEXT) | instid1(SALU_CYCLE_1)
	s_add_nc_u64 s[4:5], s[0:1], s[4:5]
	s_cmp_eq_u64 s[4:5], 0
	s_cselect_b32 s1, s1, s5
	s_cselect_b32 s0, s0, s4
	v_mov_b32_e32 v9, s1
	s_and_b64 s[4:5], s[0:1], s[8:9]
	v_mov_b32_e32 v8, s0
	s_mul_u64 s[4:5], s[4:5], 24
	s_wait_loadcnt 0x0
	v_add_nc_u64_e32 v[4:5], s[4:5], v[2:3]
	global_store_b64 v[4:5], v[10:11], off
	global_wb scope:SCOPE_SYS
	s_wait_storecnt 0x0
	s_wait_xcnt 0x0
	global_atomic_cmpswap_b64 v[2:3], v6, v[8:11], s[2:3] offset:24 th:TH_ATOMIC_RETURN scope:SCOPE_SYS
	s_wait_loadcnt 0x0
	v_cmp_ne_u64_e32 vcc_lo, v[2:3], v[10:11]
	s_and_b32 exec_lo, exec_lo, vcc_lo
	s_cbranch_execz .LBB0_113
; %bb.111:
	s_mov_b32 s4, 0
.LBB0_112:                              ; =>This Inner Loop Header: Depth=1
	v_dual_mov_b32 v0, s0 :: v_dual_mov_b32 v1, s1
	s_sleep 1
	global_store_b64 v[4:5], v[2:3], off
	global_wb scope:SCOPE_SYS
	s_wait_storecnt 0x0
	s_wait_xcnt 0x0
	global_atomic_cmpswap_b64 v[0:1], v6, v[0:3], s[2:3] offset:24 th:TH_ATOMIC_RETURN scope:SCOPE_SYS
	s_wait_loadcnt 0x0
	v_cmp_eq_u64_e32 vcc_lo, v[0:1], v[2:3]
	v_mov_b64_e32 v[2:3], v[0:1]
	s_or_b32 s4, vcc_lo, s4
	s_delay_alu instid0(SALU_CYCLE_1)
	s_and_not1_b32 exec_lo, exec_lo, s4
	s_cbranch_execnz .LBB0_112
.LBB0_113:
	s_or_b32 exec_lo, exec_lo, s7
	s_delay_alu instid0(SALU_CYCLE_1)
	s_or_b32 exec_lo, exec_lo, s6
	s_wait_loadcnt 0x0
	s_wait_kmcnt 0x0
	s_set_pc_i64 s[30:31]
.Lfunc_end0:
	.size	__ockl_fprintf_append_string_n, .Lfunc_end0-__ockl_fprintf_append_string_n
                                        ; -- End function
	.set .L__ockl_fprintf_append_string_n.num_vgpr, 38
	.set .L__ockl_fprintf_append_string_n.num_agpr, 0
	.set .L__ockl_fprintf_append_string_n.numbered_sgpr, 32
	.set .L__ockl_fprintf_append_string_n.num_named_barrier, 0
	.set .L__ockl_fprintf_append_string_n.private_seg_size, 0
	.set .L__ockl_fprintf_append_string_n.uses_vcc, 1
	.set .L__ockl_fprintf_append_string_n.uses_flat_scratch, 0
	.set .L__ockl_fprintf_append_string_n.has_dyn_sized_stack, 0
	.set .L__ockl_fprintf_append_string_n.has_recursion, 0
	.set .L__ockl_fprintf_append_string_n.has_indirect_call, 0
	.section	.AMDGPU.csdata,"",@progbits
; Function info:
; codeLenInByte = 4324
; TotalNumSgprs: 34
; NumVgprs: 38
; ScratchSize: 0
; MemoryBound: 0
	.text
	.p2align	2                               ; -- Begin function __assert_fail
	.type	__assert_fail,@function
__assert_fail:                          ; @__assert_fail
; %bb.0:
	s_wait_loadcnt_dscnt 0x0
	s_wait_kmcnt 0x0
	s_mov_b32 s20, s33
	s_mov_b32 s33, s32
	s_or_saveexec_b32 s0, -1
	scratch_store_b32 off, v40, s33 offset:48 ; 4-byte Folded Spill
	s_wait_xcnt 0x0
	s_mov_b32 exec_lo, s0
	v_writelane_b32 v40, s30, 0
	s_add_co_i32 s32, s32, 64
	v_writelane_b32 v40, s31, 1
	v_dual_mov_b32 v37, v4 :: v_dual_mov_b32 v36, v3
	v_mov_b32_e32 v3, 0
	s_get_pc_i64 s[0:1]
	s_add_nc_u64 s[0:1], s[0:1], __const.__assert_fail.fmt@rel64+35
	s_get_pc_i64 s[10:11]
	s_add_nc_u64 s[10:11], s[10:11], __const.__assert_fail.fmt@rel64+20
	v_mbcnt_lo_u32_b32 v52, -1, 0
	v_dual_mov_b32 v7, v1 :: v_dual_mov_b32 v6, v0
	global_load_b128 v[8:11], v3, s[0:1]
	s_wait_xcnt 0x0
	s_get_pc_i64 s[0:1]
	s_add_nc_u64 s[0:1], s[0:1], __const.__assert_fail.fmt@rel64+4
	s_clause 0x1
	s_load_b128 s[4:7], s[0:1], 0x0
	s_load_b128 s[12:15], s[10:11], 0x0
	s_load_b64 s[2:3], s[8:9], 0x50
	s_wait_xcnt 0x0
	v_readfirstlane_b32 s0, v52
	v_mov_b64_e32 v[0:1], 0
	s_delay_alu instid0(VALU_DEP_2)
	v_cmp_eq_u32_e64 s0, s0, v52
	s_wait_kmcnt 0x0
	v_mov_b64_e32 v[14:15], s[6:7]
	v_mov_b64_e32 v[12:13], s[4:5]
	;; [unrolled: 1-line block ×4, first 2 shown]
	s_clause 0x1
	scratch_store_b128 off, v[12:15], s33
	scratch_store_b128 off, v[16:19], s33 offset:16
	s_wait_loadcnt 0x0
	scratch_store_b128 off, v[8:11], s33 offset:31
	s_wait_xcnt 0x0
	s_and_saveexec_b32 s1, s0
	s_cbranch_execz .LBB1_6
; %bb.1:
	global_load_b64 v[10:11], v3, s[2:3] offset:24 scope:SCOPE_SYS
	s_wait_loadcnt 0x0
	global_inv scope:SCOPE_SYS
	s_clause 0x1
	global_load_b64 v[0:1], v3, s[2:3] offset:40
	global_load_b64 v[4:5], v3, s[2:3]
	s_mov_b32 s4, exec_lo
	s_wait_loadcnt 0x1
	v_and_b32_e32 v0, v0, v10
	v_and_b32_e32 v1, v1, v11
	s_delay_alu instid0(VALU_DEP_1) | instskip(SKIP_1) | instid1(VALU_DEP_1)
	v_mul_u64_e32 v[0:1], 24, v[0:1]
	s_wait_loadcnt 0x0
	v_add_nc_u64_e32 v[0:1], v[4:5], v[0:1]
	global_load_b64 v[8:9], v[0:1], off scope:SCOPE_SYS
	s_wait_xcnt 0x0
	s_wait_loadcnt 0x0
	global_atomic_cmpswap_b64 v[0:1], v3, v[8:11], s[2:3] offset:24 th:TH_ATOMIC_RETURN scope:SCOPE_SYS
	s_wait_loadcnt 0x0
	global_inv scope:SCOPE_SYS
	s_wait_xcnt 0x0
	v_cmpx_ne_u64_e64 v[0:1], v[10:11]
	s_cbranch_execz .LBB1_5
; %bb.2:
	v_mov_b32_e32 v4, 0
	s_mov_b32 s5, 0
.LBB1_3:                                ; =>This Inner Loop Header: Depth=1
	s_sleep 1
	s_clause 0x1
	global_load_b64 v[8:9], v4, s[2:3] offset:40
	global_load_b64 v[12:13], v4, s[2:3]
	v_mov_b64_e32 v[10:11], v[0:1]
	s_wait_loadcnt 0x1
	s_delay_alu instid0(VALU_DEP_1) | instskip(NEXT) | instid1(VALU_DEP_2)
	v_and_b32_e32 v0, v8, v10
	v_and_b32_e32 v5, v9, v11
	s_wait_loadcnt 0x0
	s_delay_alu instid0(VALU_DEP_2) | instskip(NEXT) | instid1(VALU_DEP_1)
	v_mad_nc_u64_u32 v[0:1], v0, 24, v[12:13]
	v_mad_u32 v1, v5, 24, v1
	global_load_b64 v[8:9], v[0:1], off scope:SCOPE_SYS
	s_wait_xcnt 0x0
	s_wait_loadcnt 0x0
	global_atomic_cmpswap_b64 v[0:1], v4, v[8:11], s[2:3] offset:24 th:TH_ATOMIC_RETURN scope:SCOPE_SYS
	s_wait_loadcnt 0x0
	global_inv scope:SCOPE_SYS
	v_cmp_eq_u64_e32 vcc_lo, v[0:1], v[10:11]
	s_or_b32 s5, vcc_lo, s5
	s_wait_xcnt 0x0
	s_and_not1_b32 exec_lo, exec_lo, s5
	s_cbranch_execnz .LBB1_3
; %bb.4:
	s_or_b32 exec_lo, exec_lo, s5
.LBB1_5:
	s_delay_alu instid0(SALU_CYCLE_1)
	s_or_b32 exec_lo, exec_lo, s4
.LBB1_6:
	s_delay_alu instid0(SALU_CYCLE_1)
	s_or_b32 exec_lo, exec_lo, s1
	s_clause 0x1
	global_load_b64 v[4:5], v3, s[2:3] offset:40
	global_load_b128 v[8:11], v3, s[2:3]
	v_readfirstlane_b32 s4, v0
	v_readfirstlane_b32 s5, v1
	s_mov_b32 s1, exec_lo
	s_wait_loadcnt 0x1
	v_and_b32_e32 v4, s4, v4
	v_and_b32_e32 v5, s5, v5
	s_delay_alu instid0(VALU_DEP_1) | instskip(SKIP_1) | instid1(VALU_DEP_1)
	v_mul_u64_e32 v[0:1], 24, v[4:5]
	s_wait_loadcnt 0x0
	v_add_nc_u64_e32 v[0:1], v[8:9], v[0:1]
	s_wait_xcnt 0x0
	s_and_saveexec_b32 s6, s0
	s_cbranch_execz .LBB1_8
; %bb.7:
	v_mov_b64_e32 v[14:15], 0x100000002
	v_dual_mov_b32 v12, s1 :: v_dual_mov_b32 v13, 0
	global_store_b128 v[0:1], v[12:15], off offset:8
.LBB1_8:
	s_wait_xcnt 0x0
	s_or_b32 exec_lo, exec_lo, s6
	v_lshlrev_b64_e32 v[4:5], 12, v[4:5]
	s_mov_b32 s12, 0
	v_dual_mov_b32 v35, 0 :: v_dual_lshlrev_b32 v34, 6, v52
	s_mov_b32 s14, s12
	s_mov_b32 s15, s12
	;; [unrolled: 1-line block ×3, first 2 shown]
	s_delay_alu instid0(VALU_DEP_2)
	v_add_nc_u64_e32 v[4:5], v[10:11], v[4:5]
	v_mov_b64_e32 v[18:19], s[14:15]
	v_mov_b64_e32 v[16:17], s[12:13]
	v_dual_mov_b32 v12, 33 :: v_dual_mov_b32 v14, 1
	v_dual_mov_b32 v13, v35 :: v_dual_mov_b32 v15, v35
	v_readfirstlane_b32 s6, v4
	v_readfirstlane_b32 s7, v5
	s_clause 0x3
	global_store_b128 v34, v[12:15], s[6:7]
	global_store_b128 v34, v[16:19], s[6:7] offset:16
	global_store_b128 v34, v[16:19], s[6:7] offset:32
	;; [unrolled: 1-line block ×3, first 2 shown]
	s_wait_xcnt 0x0
	s_and_saveexec_b32 s1, s0
	s_cbranch_execz .LBB1_16
; %bb.9:
	s_clause 0x1
	global_load_b64 v[16:17], v35, s[2:3] offset:32 scope:SCOPE_SYS
	global_load_b64 v[10:11], v35, s[2:3] offset:40
	s_mov_b32 s6, exec_lo
	v_dual_mov_b32 v14, s4 :: v_dual_mov_b32 v15, s5
	s_wait_loadcnt 0x0
	v_and_b32_e32 v11, s5, v11
	v_and_b32_e32 v10, s4, v10
	s_delay_alu instid0(VALU_DEP_1) | instskip(NEXT) | instid1(VALU_DEP_1)
	v_mul_u64_e32 v[10:11], 24, v[10:11]
	v_add_nc_u64_e32 v[12:13], v[8:9], v[10:11]
	global_store_b64 v[12:13], v[16:17], off
	global_wb scope:SCOPE_SYS
	s_wait_storecnt 0x0
	s_wait_xcnt 0x0
	global_atomic_cmpswap_b64 v[10:11], v35, v[14:17], s[2:3] offset:32 th:TH_ATOMIC_RETURN scope:SCOPE_SYS
	s_wait_loadcnt 0x0
	v_cmpx_ne_u64_e64 v[10:11], v[16:17]
	s_cbranch_execz .LBB1_12
; %bb.10:
	v_mov_b32_e32 v3, 0
	s_mov_b32 s7, 0
.LBB1_11:                               ; =>This Inner Loop Header: Depth=1
	v_dual_mov_b32 v8, s4 :: v_dual_mov_b32 v9, s5
	s_sleep 1
	global_store_b64 v[12:13], v[10:11], off
	global_wb scope:SCOPE_SYS
	s_wait_storecnt 0x0
	s_wait_xcnt 0x0
	global_atomic_cmpswap_b64 v[8:9], v3, v[8:11], s[2:3] offset:32 th:TH_ATOMIC_RETURN scope:SCOPE_SYS
	s_wait_loadcnt 0x0
	v_cmp_eq_u64_e32 vcc_lo, v[8:9], v[10:11]
	v_mov_b64_e32 v[10:11], v[8:9]
	s_or_b32 s7, vcc_lo, s7
	s_delay_alu instid0(SALU_CYCLE_1)
	s_and_not1_b32 exec_lo, exec_lo, s7
	s_cbranch_execnz .LBB1_11
.LBB1_12:
	s_or_b32 exec_lo, exec_lo, s6
	v_mov_b32_e32 v11, 0
	s_mov_b32 s7, exec_lo
	s_mov_b32 s6, exec_lo
	v_mbcnt_lo_u32_b32 v3, s7, 0
	global_load_b64 v[8:9], v11, s[2:3] offset:16
	s_wait_xcnt 0x0
	v_cmpx_eq_u32_e32 0, v3
	s_cbranch_execz .LBB1_14
; %bb.13:
	s_bcnt1_i32_b32 s7, s7
	s_delay_alu instid0(SALU_CYCLE_1)
	v_mov_b32_e32 v10, s7
	global_wb scope:SCOPE_SYS
	s_wait_loadcnt 0x0
	s_wait_storecnt 0x0
	global_atomic_add_u64 v[8:9], v[10:11], off offset:8 scope:SCOPE_SYS
.LBB1_14:
	s_wait_xcnt 0x0
	s_or_b32 exec_lo, exec_lo, s6
	s_wait_loadcnt 0x0
	global_load_b64 v[10:11], v[8:9], off offset:16
	s_wait_loadcnt 0x0
	v_cmp_eq_u64_e32 vcc_lo, 0, v[10:11]
	s_cbranch_vccnz .LBB1_16
; %bb.15:
	global_load_b32 v8, v[8:9], off offset:24
	s_wait_xcnt 0x0
	v_mov_b32_e32 v9, 0
	s_wait_loadcnt 0x0
	v_readfirstlane_b32 s6, v8
	global_wb scope:SCOPE_SYS
	s_wait_storecnt 0x0
	global_store_b64 v[10:11], v[8:9], off scope:SCOPE_SYS
	s_and_b32 m0, s6, 0xffffff
	s_sendmsg sendmsg(MSG_INTERRUPT)
.LBB1_16:
	s_wait_xcnt 0x0
	s_or_b32 exec_lo, exec_lo, s1
	v_add_nc_u64_e32 v[4:5], v[4:5], v[34:35]
	s_branch .LBB1_20
.LBB1_17:                               ;   in Loop: Header=BB1_20 Depth=1
	s_wait_xcnt 0x0
	s_or_b32 exec_lo, exec_lo, s1
	s_delay_alu instid0(VALU_DEP_1)
	v_readfirstlane_b32 s1, v3
	s_cmp_eq_u32 s1, 0
	s_cbranch_scc1 .LBB1_19
; %bb.18:                               ;   in Loop: Header=BB1_20 Depth=1
	s_sleep 1
	s_cbranch_execnz .LBB1_20
	s_branch .LBB1_22
.LBB1_19:
	s_branch .LBB1_22
.LBB1_20:                               ; =>This Inner Loop Header: Depth=1
	v_mov_b32_e32 v3, 1
	s_and_saveexec_b32 s1, s0
	s_cbranch_execz .LBB1_17
; %bb.21:                               ;   in Loop: Header=BB1_20 Depth=1
	global_load_b32 v3, v[0:1], off offset:20 scope:SCOPE_SYS
	s_wait_loadcnt 0x0
	global_inv scope:SCOPE_SYS
	v_and_b32_e32 v3, 1, v3
	s_branch .LBB1_17
.LBB1_22:
	global_load_b64 v[12:13], v[4:5], off
	s_wait_xcnt 0x0
	s_and_saveexec_b32 s6, s0
	s_cbranch_execz .LBB1_26
; %bb.23:
	v_mov_b32_e32 v3, 0
	s_clause 0x2
	global_load_b64 v[0:1], v3, s[2:3] offset:40
	global_load_b64 v[16:17], v3, s[2:3] offset:24 scope:SCOPE_SYS
	global_load_b64 v[4:5], v3, s[2:3]
	s_wait_loadcnt 0x2
	v_readfirstlane_b32 s10, v0
	v_readfirstlane_b32 s11, v1
	s_add_nc_u64 s[0:1], s[10:11], 1
	s_delay_alu instid0(SALU_CYCLE_1) | instskip(NEXT) | instid1(SALU_CYCLE_1)
	s_add_nc_u64 s[4:5], s[0:1], s[4:5]
	s_cmp_eq_u64 s[4:5], 0
	s_cselect_b32 s1, s1, s5
	s_cselect_b32 s0, s0, s4
	v_mov_b32_e32 v15, s1
	s_and_b64 s[4:5], s[0:1], s[10:11]
	v_mov_b32_e32 v14, s0
	s_mul_u64 s[4:5], s[4:5], 24
	s_wait_loadcnt 0x0
	v_add_nc_u64_e32 v[0:1], s[4:5], v[4:5]
	global_store_b64 v[0:1], v[16:17], off
	global_wb scope:SCOPE_SYS
	s_wait_storecnt 0x0
	s_wait_xcnt 0x0
	global_atomic_cmpswap_b64 v[10:11], v3, v[14:17], s[2:3] offset:24 th:TH_ATOMIC_RETURN scope:SCOPE_SYS
	s_wait_loadcnt 0x0
	v_cmp_ne_u64_e32 vcc_lo, v[10:11], v[16:17]
	s_and_b32 exec_lo, exec_lo, vcc_lo
	s_cbranch_execz .LBB1_26
; %bb.24:
	s_mov_b32 s4, 0
.LBB1_25:                               ; =>This Inner Loop Header: Depth=1
	v_dual_mov_b32 v8, s0 :: v_dual_mov_b32 v9, s1
	s_sleep 1
	global_store_b64 v[0:1], v[10:11], off
	global_wb scope:SCOPE_SYS
	s_wait_storecnt 0x0
	s_wait_xcnt 0x0
	global_atomic_cmpswap_b64 v[4:5], v3, v[8:11], s[2:3] offset:24 th:TH_ATOMIC_RETURN scope:SCOPE_SYS
	s_wait_loadcnt 0x0
	v_cmp_eq_u64_e32 vcc_lo, v[4:5], v[10:11]
	v_mov_b64_e32 v[10:11], v[4:5]
	s_or_b32 s4, vcc_lo, s4
	s_delay_alu instid0(SALU_CYCLE_1)
	s_and_not1_b32 exec_lo, exec_lo, s4
	s_cbranch_execnz .LBB1_25
.LBB1_26:
	s_or_b32 exec_lo, exec_lo, s6
	s_mov_b32 s1, s33
	s_mov_b32 s0, 0
.LBB1_27:                               ; =>This Inner Loop Header: Depth=1
	scratch_load_u8 v0, off, s1
	s_wait_xcnt 0x0
	s_add_co_i32 s1, s1, 1
	s_wait_loadcnt 0x0
	v_cmp_eq_u16_e32 vcc_lo, 0, v0
	v_mov_b32_e32 v0, s1
	s_or_b32 s0, vcc_lo, s0
	s_delay_alu instid0(SALU_CYCLE_1)
	s_and_not1_b32 exec_lo, exec_lo, s0
	s_cbranch_execnz .LBB1_27
; %bb.28:
	s_or_b32 exec_lo, exec_lo, s0
	s_cmp_lg_u32 s33, -1
	s_cbranch_scc0 .LBB1_113
; %bb.29:
	s_mov_b64 s[0:1], src_flat_scratch_base_lo
	v_mov_b64_e32 v[16:17], 0x100000002
	v_dual_add_nc_u32 v1, s0, v0 :: v_dual_mov_b32 v35, 0
	s_add_co_i32 s0, s33, s0
	v_dual_mov_b32 v9, v13 :: v_dual_bitop2_b32 v0, 2, v12 bitop3:0x40
	s_delay_alu instid0(VALU_DEP_2) | instskip(SKIP_3) | instid1(VALU_DEP_2)
	v_subrev_nc_u32_e32 v4, s0, v1
	v_dual_mov_b32 v1, s33 :: v_dual_bitop2_b32 v8, -3, v12 bitop3:0x40
	s_mov_b32 s7, 0
	s_mov_b32 s6, 0
	v_ashrrev_i32_e32 v5, 31, v4
	s_branch .LBB1_31
.LBB1_30:                               ;   in Loop: Header=BB1_31 Depth=1
	s_or_b32 exec_lo, exec_lo, s10
	v_sub_nc_u64_e32 v[4:5], v[4:5], v[38:39]
	v_add_nc_u32_e32 v1, v1, v38
	s_delay_alu instid0(VALU_DEP_2) | instskip(SKIP_1) | instid1(SALU_CYCLE_1)
	v_cmp_eq_u64_e32 vcc_lo, 0, v[4:5]
	s_or_b32 s6, vcc_lo, s6
	s_and_not1_b32 exec_lo, exec_lo, s6
	s_cbranch_execz .LBB1_114
.LBB1_31:                               ; =>This Loop Header: Depth=1
                                        ;     Child Loop BB1_34 Depth 2
                                        ;     Child Loop BB1_42 Depth 2
	;; [unrolled: 1-line block ×11, first 2 shown]
	s_delay_alu instid0(VALU_DEP_1)
	v_min_u64 v[38:39], v[4:5], 56
	v_add_nc_u32_e32 v14, 8, v1
	s_mov_b32 s0, exec_lo
	v_cmpx_gt_u64_e32 8, v[4:5]
	s_xor_b32 s4, exec_lo, s0
	s_cbranch_execz .LBB1_37
; %bb.32:                               ;   in Loop: Header=BB1_31 Depth=1
	v_mov_b64_e32 v[10:11], 0
	s_mov_b32 s5, exec_lo
	v_cmpx_ne_u64_e32 0, v[4:5]
	s_cbranch_execz .LBB1_36
; %bb.33:                               ;   in Loop: Header=BB1_31 Depth=1
	v_mov_b64_e32 v[10:11], 0
	v_dual_mov_b32 v3, v1 :: v_dual_lshlrev_b32 v14, 3, v38
	s_mov_b64 s[0:1], 0
	s_mov_b32 s10, 0
.LBB1_34:                               ;   Parent Loop BB1_31 Depth=1
                                        ; =>  This Inner Loop Header: Depth=2
	scratch_load_u8 v15, v3, off
	s_wait_xcnt 0x0
	v_dual_mov_b32 v19, s7 :: v_dual_add_nc_u32 v3, 1, v3
	s_wait_loadcnt 0x0
	v_and_b32_e32 v18, 0xffff, v15
	s_delay_alu instid0(VALU_DEP_1) | instskip(SKIP_1) | instid1(SALU_CYCLE_1)
	v_lshlrev_b64_e32 v[18:19], s0, v[18:19]
	s_add_nc_u64 s[0:1], s[0:1], 8
	v_cmp_eq_u32_e32 vcc_lo, s0, v14
	s_delay_alu instid0(VALU_DEP_2) | instskip(NEXT) | instid1(VALU_DEP_3)
	v_or_b32_e32 v11, v19, v11
	v_or_b32_e32 v10, v18, v10
	s_or_b32 s10, vcc_lo, s10
	s_delay_alu instid0(SALU_CYCLE_1)
	s_and_not1_b32 exec_lo, exec_lo, s10
	s_cbranch_execnz .LBB1_34
; %bb.35:                               ;   in Loop: Header=BB1_31 Depth=1
	s_or_b32 exec_lo, exec_lo, s10
.LBB1_36:                               ;   in Loop: Header=BB1_31 Depth=1
	s_delay_alu instid0(SALU_CYCLE_1)
	s_or_b32 exec_lo, exec_lo, s5
	v_mov_b32_e32 v14, v1
.LBB1_37:                               ;   in Loop: Header=BB1_31 Depth=1
	s_or_saveexec_b32 s0, s4
	v_mov_b32_e32 v15, 0
	s_xor_b32 exec_lo, exec_lo, s0
	s_cbranch_execz .LBB1_39
; %bb.38:                               ;   in Loop: Header=BB1_31 Depth=1
	scratch_load_b64 v[10:11], v1, off
	v_add_nc_u32_e32 v15, -8, v38
.LBB1_39:                               ;   in Loop: Header=BB1_31 Depth=1
	s_wait_xcnt 0x0
	s_or_b32 exec_lo, exec_lo, s0
	v_add_nc_u32_e32 v3, 8, v14
                                        ; implicit-def: $vgpr18_vgpr19
	s_mov_b32 s0, exec_lo
	v_cmpx_gt_u32_e32 8, v15
	s_xor_b32 s4, exec_lo, s0
	s_cbranch_execz .LBB1_45
; %bb.40:                               ;   in Loop: Header=BB1_31 Depth=1
	v_mov_b64_e32 v[18:19], 0
	s_mov_b32 s5, exec_lo
	v_cmpx_ne_u32_e32 0, v15
	s_cbranch_execz .LBB1_44
; %bb.41:                               ;   in Loop: Header=BB1_31 Depth=1
	v_mov_b64_e32 v[18:19], 0
	s_mov_b64 s[0:1], 0
	s_mov_b32 s10, 0
	s_mov_b32 s11, 0
.LBB1_42:                               ;   Parent Loop BB1_31 Depth=1
                                        ; =>  This Inner Loop Header: Depth=2
	scratch_load_u8 v3, v14, s11
	v_mov_b32_e32 v21, s7
	s_wait_xcnt 0x0
	s_add_co_i32 s11, s11, 1
	s_delay_alu instid0(SALU_CYCLE_1) | instskip(SKIP_3) | instid1(VALU_DEP_1)
	v_cmp_eq_u32_e32 vcc_lo, s11, v15
	s_or_b32 s10, vcc_lo, s10
	s_wait_loadcnt 0x0
	v_and_b32_e32 v20, 0xffff, v3
	v_lshlrev_b64_e32 v[20:21], s0, v[20:21]
	s_add_nc_u64 s[0:1], s[0:1], 8
	s_delay_alu instid0(VALU_DEP_1) | instskip(NEXT) | instid1(VALU_DEP_2)
	v_or_b32_e32 v19, v21, v19
	v_or_b32_e32 v18, v20, v18
	s_and_not1_b32 exec_lo, exec_lo, s10
	s_cbranch_execnz .LBB1_42
; %bb.43:                               ;   in Loop: Header=BB1_31 Depth=1
	s_or_b32 exec_lo, exec_lo, s10
.LBB1_44:                               ;   in Loop: Header=BB1_31 Depth=1
	s_delay_alu instid0(SALU_CYCLE_1)
	s_or_b32 exec_lo, exec_lo, s5
	v_mov_b32_e32 v3, v14
                                        ; implicit-def: $vgpr15
.LBB1_45:                               ;   in Loop: Header=BB1_31 Depth=1
	s_or_saveexec_b32 s0, s4
	v_mov_b32_e32 v22, 0
	s_xor_b32 exec_lo, exec_lo, s0
	s_cbranch_execz .LBB1_47
; %bb.46:                               ;   in Loop: Header=BB1_31 Depth=1
	scratch_load_b64 v[18:19], v14, off
	v_add_nc_u32_e32 v22, -8, v15
.LBB1_47:                               ;   in Loop: Header=BB1_31 Depth=1
	s_wait_xcnt 0x0
	s_or_b32 exec_lo, exec_lo, s0
	v_add_nc_u32_e32 v14, 8, v3
	s_mov_b32 s0, exec_lo
	v_cmpx_gt_u32_e32 8, v22
	s_xor_b32 s4, exec_lo, s0
	s_cbranch_execz .LBB1_53
; %bb.48:                               ;   in Loop: Header=BB1_31 Depth=1
	v_mov_b64_e32 v[20:21], 0
	s_mov_b32 s5, exec_lo
	v_cmpx_ne_u32_e32 0, v22
	s_cbranch_execz .LBB1_52
; %bb.49:                               ;   in Loop: Header=BB1_31 Depth=1
	v_mov_b64_e32 v[20:21], 0
	s_mov_b64 s[0:1], 0
	s_mov_b32 s10, 0
	s_mov_b32 s11, 0
.LBB1_50:                               ;   Parent Loop BB1_31 Depth=1
                                        ; =>  This Inner Loop Header: Depth=2
	scratch_load_u8 v14, v3, s11
	v_mov_b32_e32 v15, s7
	s_wait_xcnt 0x0
	s_add_co_i32 s11, s11, 1
	s_delay_alu instid0(SALU_CYCLE_1) | instskip(SKIP_3) | instid1(VALU_DEP_1)
	v_cmp_eq_u32_e32 vcc_lo, s11, v22
	s_or_b32 s10, vcc_lo, s10
	s_wait_loadcnt 0x0
	v_and_b32_e32 v14, 0xffff, v14
	v_lshlrev_b64_e32 v[14:15], s0, v[14:15]
	s_add_nc_u64 s[0:1], s[0:1], 8
	s_delay_alu instid0(VALU_DEP_1) | instskip(NEXT) | instid1(VALU_DEP_2)
	v_or_b32_e32 v21, v15, v21
	v_or_b32_e32 v20, v14, v20
	s_and_not1_b32 exec_lo, exec_lo, s10
	s_cbranch_execnz .LBB1_50
; %bb.51:                               ;   in Loop: Header=BB1_31 Depth=1
	s_or_b32 exec_lo, exec_lo, s10
.LBB1_52:                               ;   in Loop: Header=BB1_31 Depth=1
	s_delay_alu instid0(SALU_CYCLE_1)
	s_or_b32 exec_lo, exec_lo, s5
	v_mov_b32_e32 v14, v3
                                        ; implicit-def: $vgpr22
.LBB1_53:                               ;   in Loop: Header=BB1_31 Depth=1
	s_or_saveexec_b32 s0, s4
	v_mov_b32_e32 v15, 0
	s_xor_b32 exec_lo, exec_lo, s0
	s_cbranch_execz .LBB1_55
; %bb.54:                               ;   in Loop: Header=BB1_31 Depth=1
	scratch_load_b64 v[20:21], v3, off
	v_add_nc_u32_e32 v15, -8, v22
.LBB1_55:                               ;   in Loop: Header=BB1_31 Depth=1
	s_wait_xcnt 0x0
	s_or_b32 exec_lo, exec_lo, s0
	v_add_nc_u32_e32 v3, 8, v14
                                        ; implicit-def: $vgpr22_vgpr23
	s_mov_b32 s0, exec_lo
	v_cmpx_gt_u32_e32 8, v15
	s_xor_b32 s4, exec_lo, s0
	s_cbranch_execz .LBB1_61
; %bb.56:                               ;   in Loop: Header=BB1_31 Depth=1
	v_mov_b64_e32 v[22:23], 0
	s_mov_b32 s5, exec_lo
	v_cmpx_ne_u32_e32 0, v15
	s_cbranch_execz .LBB1_60
; %bb.57:                               ;   in Loop: Header=BB1_31 Depth=1
	v_mov_b64_e32 v[22:23], 0
	s_mov_b64 s[0:1], 0
	s_mov_b32 s10, 0
	s_mov_b32 s11, 0
.LBB1_58:                               ;   Parent Loop BB1_31 Depth=1
                                        ; =>  This Inner Loop Header: Depth=2
	scratch_load_u8 v3, v14, s11
	v_mov_b32_e32 v25, s7
	s_wait_xcnt 0x0
	s_add_co_i32 s11, s11, 1
	s_delay_alu instid0(SALU_CYCLE_1) | instskip(SKIP_3) | instid1(VALU_DEP_1)
	v_cmp_eq_u32_e32 vcc_lo, s11, v15
	s_or_b32 s10, vcc_lo, s10
	s_wait_loadcnt 0x0
	v_and_b32_e32 v24, 0xffff, v3
	v_lshlrev_b64_e32 v[24:25], s0, v[24:25]
	s_add_nc_u64 s[0:1], s[0:1], 8
	s_delay_alu instid0(VALU_DEP_1) | instskip(NEXT) | instid1(VALU_DEP_2)
	v_or_b32_e32 v23, v25, v23
	v_or_b32_e32 v22, v24, v22
	s_and_not1_b32 exec_lo, exec_lo, s10
	s_cbranch_execnz .LBB1_58
; %bb.59:                               ;   in Loop: Header=BB1_31 Depth=1
	s_or_b32 exec_lo, exec_lo, s10
.LBB1_60:                               ;   in Loop: Header=BB1_31 Depth=1
	s_delay_alu instid0(SALU_CYCLE_1)
	s_or_b32 exec_lo, exec_lo, s5
	v_mov_b32_e32 v3, v14
                                        ; implicit-def: $vgpr15
.LBB1_61:                               ;   in Loop: Header=BB1_31 Depth=1
	s_or_saveexec_b32 s0, s4
	v_mov_b32_e32 v26, 0
	s_xor_b32 exec_lo, exec_lo, s0
	s_cbranch_execz .LBB1_63
; %bb.62:                               ;   in Loop: Header=BB1_31 Depth=1
	scratch_load_b64 v[22:23], v14, off
	v_add_nc_u32_e32 v26, -8, v15
.LBB1_63:                               ;   in Loop: Header=BB1_31 Depth=1
	s_wait_xcnt 0x0
	s_or_b32 exec_lo, exec_lo, s0
	v_add_nc_u32_e32 v14, 8, v3
	s_mov_b32 s0, exec_lo
	v_cmpx_gt_u32_e32 8, v26
	s_xor_b32 s4, exec_lo, s0
	s_cbranch_execz .LBB1_69
; %bb.64:                               ;   in Loop: Header=BB1_31 Depth=1
	v_mov_b64_e32 v[24:25], 0
	s_mov_b32 s5, exec_lo
	v_cmpx_ne_u32_e32 0, v26
	s_cbranch_execz .LBB1_68
; %bb.65:                               ;   in Loop: Header=BB1_31 Depth=1
	v_mov_b64_e32 v[24:25], 0
	s_mov_b64 s[0:1], 0
	s_mov_b32 s10, 0
	s_mov_b32 s11, 0
.LBB1_66:                               ;   Parent Loop BB1_31 Depth=1
                                        ; =>  This Inner Loop Header: Depth=2
	scratch_load_u8 v14, v3, s11
	v_mov_b32_e32 v15, s7
	s_wait_xcnt 0x0
	s_add_co_i32 s11, s11, 1
	s_delay_alu instid0(SALU_CYCLE_1) | instskip(SKIP_3) | instid1(VALU_DEP_1)
	v_cmp_eq_u32_e32 vcc_lo, s11, v26
	s_or_b32 s10, vcc_lo, s10
	s_wait_loadcnt 0x0
	v_and_b32_e32 v14, 0xffff, v14
	v_lshlrev_b64_e32 v[14:15], s0, v[14:15]
	s_add_nc_u64 s[0:1], s[0:1], 8
	s_delay_alu instid0(VALU_DEP_1) | instskip(NEXT) | instid1(VALU_DEP_2)
	v_or_b32_e32 v25, v15, v25
	v_or_b32_e32 v24, v14, v24
	s_and_not1_b32 exec_lo, exec_lo, s10
	s_cbranch_execnz .LBB1_66
; %bb.67:                               ;   in Loop: Header=BB1_31 Depth=1
	s_or_b32 exec_lo, exec_lo, s10
.LBB1_68:                               ;   in Loop: Header=BB1_31 Depth=1
	s_delay_alu instid0(SALU_CYCLE_1)
	s_or_b32 exec_lo, exec_lo, s5
	v_mov_b32_e32 v14, v3
                                        ; implicit-def: $vgpr26
.LBB1_69:                               ;   in Loop: Header=BB1_31 Depth=1
	s_or_saveexec_b32 s0, s4
	v_mov_b32_e32 v15, 0
	s_xor_b32 exec_lo, exec_lo, s0
	s_cbranch_execz .LBB1_71
; %bb.70:                               ;   in Loop: Header=BB1_31 Depth=1
	scratch_load_b64 v[24:25], v3, off
	v_add_nc_u32_e32 v15, -8, v26
.LBB1_71:                               ;   in Loop: Header=BB1_31 Depth=1
	s_wait_xcnt 0x0
	s_or_b32 exec_lo, exec_lo, s0
	v_add_nc_u32_e32 v3, 8, v14
                                        ; implicit-def: $vgpr26_vgpr27
	s_mov_b32 s0, exec_lo
	v_cmpx_gt_u32_e32 8, v15
	s_xor_b32 s4, exec_lo, s0
	s_cbranch_execz .LBB1_77
; %bb.72:                               ;   in Loop: Header=BB1_31 Depth=1
	v_mov_b64_e32 v[26:27], 0
	s_mov_b32 s5, exec_lo
	v_cmpx_ne_u32_e32 0, v15
	s_cbranch_execz .LBB1_76
; %bb.73:                               ;   in Loop: Header=BB1_31 Depth=1
	v_mov_b64_e32 v[26:27], 0
	s_mov_b64 s[0:1], 0
	s_mov_b32 s10, 0
	s_mov_b32 s11, 0
.LBB1_74:                               ;   Parent Loop BB1_31 Depth=1
                                        ; =>  This Inner Loop Header: Depth=2
	scratch_load_u8 v3, v14, s11
	v_mov_b32_e32 v29, s7
	s_wait_xcnt 0x0
	s_add_co_i32 s11, s11, 1
	s_delay_alu instid0(SALU_CYCLE_1) | instskip(SKIP_3) | instid1(VALU_DEP_1)
	v_cmp_eq_u32_e32 vcc_lo, s11, v15
	s_or_b32 s10, vcc_lo, s10
	s_wait_loadcnt 0x0
	v_and_b32_e32 v28, 0xffff, v3
	v_lshlrev_b64_e32 v[28:29], s0, v[28:29]
	s_add_nc_u64 s[0:1], s[0:1], 8
	s_delay_alu instid0(VALU_DEP_1) | instskip(NEXT) | instid1(VALU_DEP_2)
	v_or_b32_e32 v27, v29, v27
	v_or_b32_e32 v26, v28, v26
	s_and_not1_b32 exec_lo, exec_lo, s10
	s_cbranch_execnz .LBB1_74
; %bb.75:                               ;   in Loop: Header=BB1_31 Depth=1
	s_or_b32 exec_lo, exec_lo, s10
.LBB1_76:                               ;   in Loop: Header=BB1_31 Depth=1
	s_delay_alu instid0(SALU_CYCLE_1)
	s_or_b32 exec_lo, exec_lo, s5
	v_mov_b32_e32 v3, v14
                                        ; implicit-def: $vgpr15
.LBB1_77:                               ;   in Loop: Header=BB1_31 Depth=1
	s_or_saveexec_b32 s0, s4
	v_mov_b32_e32 v30, 0
	s_xor_b32 exec_lo, exec_lo, s0
	s_cbranch_execz .LBB1_79
; %bb.78:                               ;   in Loop: Header=BB1_31 Depth=1
	scratch_load_b64 v[26:27], v14, off
	v_add_nc_u32_e32 v30, -8, v15
.LBB1_79:                               ;   in Loop: Header=BB1_31 Depth=1
	s_wait_xcnt 0x0
	s_or_b32 exec_lo, exec_lo, s0
	s_delay_alu instid0(SALU_CYCLE_1) | instskip(NEXT) | instid1(VALU_DEP_1)
	s_mov_b32 s0, exec_lo
	v_cmpx_gt_u32_e32 8, v30
	s_xor_b32 s4, exec_lo, s0
	s_cbranch_execz .LBB1_85
; %bb.80:                               ;   in Loop: Header=BB1_31 Depth=1
	v_mov_b64_e32 v[28:29], 0
	s_mov_b32 s5, exec_lo
	v_cmpx_ne_u32_e32 0, v30
	s_cbranch_execz .LBB1_84
; %bb.81:                               ;   in Loop: Header=BB1_31 Depth=1
	v_mov_b64_e32 v[28:29], 0
	s_mov_b64 s[0:1], 0
	s_mov_b32 s10, 0
.LBB1_82:                               ;   Parent Loop BB1_31 Depth=1
                                        ; =>  This Inner Loop Header: Depth=2
	scratch_load_u8 v14, v3, off
	v_dual_mov_b32 v15, s7 :: v_dual_add_nc_u32 v30, -1, v30
	s_delay_alu instid0(VALU_DEP_1) | instskip(SKIP_3) | instid1(VALU_DEP_1)
	v_cmp_eq_u32_e32 vcc_lo, 0, v30
	s_or_b32 s10, vcc_lo, s10
	s_wait_loadcnt 0x0
	v_and_b32_e32 v14, 0xffff, v14
	v_lshlrev_b64_e32 v[14:15], s0, v[14:15]
	s_wait_xcnt 0x0
	v_add_nc_u32_e32 v3, 1, v3
	s_add_nc_u64 s[0:1], s[0:1], 8
	s_delay_alu instid0(VALU_DEP_2) | instskip(NEXT) | instid1(VALU_DEP_3)
	v_or_b32_e32 v29, v15, v29
	v_or_b32_e32 v28, v14, v28
	s_and_not1_b32 exec_lo, exec_lo, s10
	s_cbranch_execnz .LBB1_82
; %bb.83:                               ;   in Loop: Header=BB1_31 Depth=1
	s_or_b32 exec_lo, exec_lo, s10
.LBB1_84:                               ;   in Loop: Header=BB1_31 Depth=1
	s_delay_alu instid0(SALU_CYCLE_1)
	s_or_b32 exec_lo, exec_lo, s5
                                        ; implicit-def: $vgpr3
.LBB1_85:                               ;   in Loop: Header=BB1_31 Depth=1
	s_and_not1_saveexec_b32 s0, s4
	s_cbranch_execz .LBB1_87
; %bb.86:                               ;   in Loop: Header=BB1_31 Depth=1
	scratch_load_b64 v[28:29], v3, off
.LBB1_87:                               ;   in Loop: Header=BB1_31 Depth=1
	s_wait_xcnt 0x0
	s_or_b32 exec_lo, exec_lo, s0
	v_readfirstlane_b32 s0, v52
	v_mov_b64_e32 v[14:15], 0
	s_delay_alu instid0(VALU_DEP_2)
	v_cmp_eq_u32_e64 s0, s0, v52
	s_and_saveexec_b32 s1, s0
	s_cbranch_execz .LBB1_93
; %bb.88:                               ;   in Loop: Header=BB1_31 Depth=1
	global_load_b64 v[32:33], v35, s[2:3] offset:24 scope:SCOPE_SYS
	s_wait_loadcnt 0x0
	global_inv scope:SCOPE_SYS
	s_clause 0x1
	global_load_b64 v[14:15], v35, s[2:3] offset:40
	global_load_b64 v[30:31], v35, s[2:3]
	s_mov_b32 s4, exec_lo
	s_wait_loadcnt 0x1
	v_and_b32_e32 v14, v14, v32
	v_and_b32_e32 v15, v15, v33
	s_delay_alu instid0(VALU_DEP_1) | instskip(SKIP_1) | instid1(VALU_DEP_1)
	v_mul_u64_e32 v[14:15], 24, v[14:15]
	s_wait_loadcnt 0x0
	v_add_nc_u64_e32 v[14:15], v[30:31], v[14:15]
	global_load_b64 v[30:31], v[14:15], off scope:SCOPE_SYS
	s_wait_xcnt 0x0
	s_wait_loadcnt 0x0
	global_atomic_cmpswap_b64 v[14:15], v35, v[30:33], s[2:3] offset:24 th:TH_ATOMIC_RETURN scope:SCOPE_SYS
	s_wait_loadcnt 0x0
	global_inv scope:SCOPE_SYS
	s_wait_xcnt 0x0
	v_cmpx_ne_u64_e64 v[14:15], v[32:33]
	s_cbranch_execz .LBB1_92
; %bb.89:                               ;   in Loop: Header=BB1_31 Depth=1
	s_mov_b32 s5, 0
.LBB1_90:                               ;   Parent Loop BB1_31 Depth=1
                                        ; =>  This Inner Loop Header: Depth=2
	s_sleep 1
	s_clause 0x1
	global_load_b64 v[30:31], v35, s[2:3] offset:40
	global_load_b64 v[48:49], v35, s[2:3]
	v_mov_b64_e32 v[32:33], v[14:15]
	s_wait_loadcnt 0x1
	s_delay_alu instid0(VALU_DEP_1) | instskip(SKIP_1) | instid1(VALU_DEP_1)
	v_and_b32_e32 v3, v30, v32
	s_wait_loadcnt 0x0
	v_mad_nc_u64_u32 v[14:15], v3, 24, v[48:49]
	s_delay_alu instid0(VALU_DEP_3) | instskip(NEXT) | instid1(VALU_DEP_1)
	v_and_b32_e32 v3, v31, v33
	v_mad_u32 v15, v3, 24, v15
	global_load_b64 v[30:31], v[14:15], off scope:SCOPE_SYS
	s_wait_xcnt 0x0
	s_wait_loadcnt 0x0
	global_atomic_cmpswap_b64 v[14:15], v35, v[30:33], s[2:3] offset:24 th:TH_ATOMIC_RETURN scope:SCOPE_SYS
	s_wait_loadcnt 0x0
	global_inv scope:SCOPE_SYS
	v_cmp_eq_u64_e32 vcc_lo, v[14:15], v[32:33]
	s_or_b32 s5, vcc_lo, s5
	s_wait_xcnt 0x0
	s_and_not1_b32 exec_lo, exec_lo, s5
	s_cbranch_execnz .LBB1_90
; %bb.91:                               ;   in Loop: Header=BB1_31 Depth=1
	s_or_b32 exec_lo, exec_lo, s5
.LBB1_92:                               ;   in Loop: Header=BB1_31 Depth=1
	s_delay_alu instid0(SALU_CYCLE_1)
	s_or_b32 exec_lo, exec_lo, s4
.LBB1_93:                               ;   in Loop: Header=BB1_31 Depth=1
	s_delay_alu instid0(SALU_CYCLE_1)
	s_or_b32 exec_lo, exec_lo, s1
	s_clause 0x1
	global_load_b64 v[48:49], v35, s[2:3] offset:40
	global_load_b128 v[30:33], v35, s[2:3]
	v_readfirstlane_b32 s4, v14
	v_readfirstlane_b32 s5, v15
	s_mov_b32 s1, exec_lo
	s_wait_loadcnt 0x1
	v_and_b32_e32 v50, s4, v48
	v_and_b32_e32 v51, s5, v49
	s_delay_alu instid0(VALU_DEP_1) | instskip(SKIP_1) | instid1(VALU_DEP_1)
	v_mul_u64_e32 v[14:15], 24, v[50:51]
	s_wait_loadcnt 0x0
	v_add_nc_u64_e32 v[48:49], v[30:31], v[14:15]
	s_wait_xcnt 0x0
	s_and_saveexec_b32 s10, s0
	s_cbranch_execz .LBB1_95
; %bb.94:                               ;   in Loop: Header=BB1_31 Depth=1
	v_dual_mov_b32 v14, s1 :: v_dual_mov_b32 v15, v35
	global_store_b128 v[48:49], v[14:17], off offset:8
.LBB1_95:                               ;   in Loop: Header=BB1_31 Depth=1
	s_wait_xcnt 0x0
	s_or_b32 exec_lo, exec_lo, s10
	v_cmp_gt_u64_e32 vcc_lo, 57, v[4:5]
	v_lshlrev_b64_e32 v[14:15], 12, v[50:51]
	v_and_b32_e32 v8, 0xffffff1f, v8
	v_lshl_add_u32 v50, v38, 2, 28
	v_cndmask_b32_e32 v3, 0, v0, vcc_lo
	s_delay_alu instid0(VALU_DEP_4) | instskip(NEXT) | instid1(VALU_DEP_2)
	v_add_nc_u64_e32 v[14:15], v[32:33], v[14:15]
	v_or_b32_e32 v3, v8, v3
	s_delay_alu instid0(VALU_DEP_2) | instskip(NEXT) | instid1(VALU_DEP_3)
	v_readfirstlane_b32 s10, v14
	v_readfirstlane_b32 s11, v15
	s_delay_alu instid0(VALU_DEP_3)
	v_and_or_b32 v8, 0x1e0, v50, v3
	s_clause 0x3
	global_store_b128 v34, v[8:11], s[10:11]
	global_store_b128 v34, v[18:21], s[10:11] offset:16
	global_store_b128 v34, v[22:25], s[10:11] offset:32
	;; [unrolled: 1-line block ×3, first 2 shown]
	s_wait_xcnt 0x0
	s_and_saveexec_b32 s1, s0
	s_cbranch_execz .LBB1_103
; %bb.96:                               ;   in Loop: Header=BB1_31 Depth=1
	s_clause 0x1
	global_load_b64 v[22:23], v35, s[2:3] offset:32 scope:SCOPE_SYS
	global_load_b64 v[8:9], v35, s[2:3] offset:40
	s_mov_b32 s10, exec_lo
	v_dual_mov_b32 v20, s4 :: v_dual_mov_b32 v21, s5
	s_wait_loadcnt 0x0
	v_and_b32_e32 v9, s5, v9
	v_and_b32_e32 v8, s4, v8
	s_delay_alu instid0(VALU_DEP_1) | instskip(NEXT) | instid1(VALU_DEP_1)
	v_mul_u64_e32 v[8:9], 24, v[8:9]
	v_add_nc_u64_e32 v[18:19], v[30:31], v[8:9]
	global_store_b64 v[18:19], v[22:23], off
	global_wb scope:SCOPE_SYS
	s_wait_storecnt 0x0
	s_wait_xcnt 0x0
	global_atomic_cmpswap_b64 v[10:11], v35, v[20:23], s[2:3] offset:32 th:TH_ATOMIC_RETURN scope:SCOPE_SYS
	s_wait_loadcnt 0x0
	v_cmpx_ne_u64_e64 v[10:11], v[22:23]
	s_cbranch_execz .LBB1_99
; %bb.97:                               ;   in Loop: Header=BB1_31 Depth=1
	s_mov_b32 s11, 0
.LBB1_98:                               ;   Parent Loop BB1_31 Depth=1
                                        ; =>  This Inner Loop Header: Depth=2
	v_dual_mov_b32 v8, s4 :: v_dual_mov_b32 v9, s5
	s_sleep 1
	global_store_b64 v[18:19], v[10:11], off
	global_wb scope:SCOPE_SYS
	s_wait_storecnt 0x0
	s_wait_xcnt 0x0
	global_atomic_cmpswap_b64 v[8:9], v35, v[8:11], s[2:3] offset:32 th:TH_ATOMIC_RETURN scope:SCOPE_SYS
	s_wait_loadcnt 0x0
	v_cmp_eq_u64_e32 vcc_lo, v[8:9], v[10:11]
	v_mov_b64_e32 v[10:11], v[8:9]
	s_or_b32 s11, vcc_lo, s11
	s_delay_alu instid0(SALU_CYCLE_1)
	s_and_not1_b32 exec_lo, exec_lo, s11
	s_cbranch_execnz .LBB1_98
.LBB1_99:                               ;   in Loop: Header=BB1_31 Depth=1
	s_or_b32 exec_lo, exec_lo, s10
	global_load_b64 v[8:9], v35, s[2:3] offset:16
	s_mov_b32 s11, exec_lo
	s_mov_b32 s10, exec_lo
	v_mbcnt_lo_u32_b32 v3, s11, 0
	s_wait_xcnt 0x0
	s_delay_alu instid0(VALU_DEP_1)
	v_cmpx_eq_u32_e32 0, v3
	s_cbranch_execz .LBB1_101
; %bb.100:                              ;   in Loop: Header=BB1_31 Depth=1
	s_bcnt1_i32_b32 s11, s11
	s_delay_alu instid0(SALU_CYCLE_1)
	v_dual_mov_b32 v11, v35 :: v_dual_mov_b32 v10, s11
	global_wb scope:SCOPE_SYS
	s_wait_loadcnt 0x0
	s_wait_storecnt 0x0
	global_atomic_add_u64 v[8:9], v[10:11], off offset:8 scope:SCOPE_SYS
.LBB1_101:                              ;   in Loop: Header=BB1_31 Depth=1
	s_wait_xcnt 0x0
	s_or_b32 exec_lo, exec_lo, s10
	s_wait_loadcnt 0x0
	global_load_b64 v[10:11], v[8:9], off offset:16
	s_wait_loadcnt 0x0
	v_cmp_eq_u64_e32 vcc_lo, 0, v[10:11]
	s_cbranch_vccnz .LBB1_103
; %bb.102:                              ;   in Loop: Header=BB1_31 Depth=1
	global_load_b32 v8, v[8:9], off offset:24
	s_wait_xcnt 0x0
	v_mov_b32_e32 v9, v35
	s_wait_loadcnt 0x0
	v_readfirstlane_b32 s10, v8
	global_wb scope:SCOPE_SYS
	s_wait_storecnt 0x0
	global_store_b64 v[10:11], v[8:9], off scope:SCOPE_SYS
	s_and_b32 m0, s10, 0xffffff
	s_sendmsg sendmsg(MSG_INTERRUPT)
.LBB1_103:                              ;   in Loop: Header=BB1_31 Depth=1
	s_wait_xcnt 0x0
	s_or_b32 exec_lo, exec_lo, s1
	v_add_nc_u64_e32 v[8:9], v[14:15], v[34:35]
	s_branch .LBB1_107
.LBB1_104:                              ;   in Loop: Header=BB1_107 Depth=2
	s_wait_xcnt 0x0
	s_or_b32 exec_lo, exec_lo, s1
	s_delay_alu instid0(VALU_DEP_1)
	v_readfirstlane_b32 s1, v3
	s_cmp_eq_u32 s1, 0
	s_cbranch_scc1 .LBB1_106
; %bb.105:                              ;   in Loop: Header=BB1_107 Depth=2
	s_sleep 1
	s_cbranch_execnz .LBB1_107
	s_branch .LBB1_109
.LBB1_106:                              ;   in Loop: Header=BB1_31 Depth=1
	s_branch .LBB1_109
.LBB1_107:                              ;   Parent Loop BB1_31 Depth=1
                                        ; =>  This Inner Loop Header: Depth=2
	v_mov_b32_e32 v3, 1
	s_and_saveexec_b32 s1, s0
	s_cbranch_execz .LBB1_104
; %bb.108:                              ;   in Loop: Header=BB1_107 Depth=2
	global_load_b32 v3, v[48:49], off offset:20 scope:SCOPE_SYS
	s_wait_loadcnt 0x0
	global_inv scope:SCOPE_SYS
	v_and_b32_e32 v3, 1, v3
	s_branch .LBB1_104
.LBB1_109:                              ;   in Loop: Header=BB1_31 Depth=1
	global_load_b64 v[8:9], v[8:9], off
	s_wait_xcnt 0x0
	s_and_saveexec_b32 s10, s0
	s_cbranch_execz .LBB1_30
; %bb.110:                              ;   in Loop: Header=BB1_31 Depth=1
	s_clause 0x2
	global_load_b64 v[10:11], v35, s[2:3] offset:40
	global_load_b64 v[22:23], v35, s[2:3] offset:24 scope:SCOPE_SYS
	global_load_b64 v[14:15], v35, s[2:3]
	s_wait_loadcnt 0x2
	v_readfirstlane_b32 s12, v10
	v_readfirstlane_b32 s13, v11
	s_add_nc_u64 s[0:1], s[12:13], 1
	s_delay_alu instid0(SALU_CYCLE_1) | instskip(NEXT) | instid1(SALU_CYCLE_1)
	s_add_nc_u64 s[4:5], s[0:1], s[4:5]
	s_cmp_eq_u64 s[4:5], 0
	s_cselect_b32 s1, s1, s5
	s_cselect_b32 s0, s0, s4
	s_delay_alu instid0(SALU_CYCLE_1) | instskip(SKIP_1) | instid1(SALU_CYCLE_1)
	v_dual_mov_b32 v21, s1 :: v_dual_mov_b32 v20, s0
	s_and_b64 s[4:5], s[0:1], s[12:13]
	s_mul_u64 s[4:5], s[4:5], 24
	s_wait_loadcnt 0x0
	v_add_nc_u64_e32 v[10:11], s[4:5], v[14:15]
	global_store_b64 v[10:11], v[22:23], off
	global_wb scope:SCOPE_SYS
	s_wait_storecnt 0x0
	s_wait_xcnt 0x0
	global_atomic_cmpswap_b64 v[20:21], v35, v[20:23], s[2:3] offset:24 th:TH_ATOMIC_RETURN scope:SCOPE_SYS
	s_wait_loadcnt 0x0
	v_cmp_ne_u64_e32 vcc_lo, v[20:21], v[22:23]
	s_and_b32 exec_lo, exec_lo, vcc_lo
	s_cbranch_execz .LBB1_30
; %bb.111:                              ;   in Loop: Header=BB1_31 Depth=1
	s_mov_b32 s4, 0
.LBB1_112:                              ;   Parent Loop BB1_31 Depth=1
                                        ; =>  This Inner Loop Header: Depth=2
	v_dual_mov_b32 v18, s0 :: v_dual_mov_b32 v19, s1
	s_sleep 1
	global_store_b64 v[10:11], v[20:21], off
	global_wb scope:SCOPE_SYS
	s_wait_storecnt 0x0
	s_wait_xcnt 0x0
	global_atomic_cmpswap_b64 v[14:15], v35, v[18:21], s[2:3] offset:24 th:TH_ATOMIC_RETURN scope:SCOPE_SYS
	s_wait_loadcnt 0x0
	v_cmp_eq_u64_e32 vcc_lo, v[14:15], v[20:21]
	v_mov_b64_e32 v[20:21], v[14:15]
	s_or_b32 s4, vcc_lo, s4
	s_delay_alu instid0(SALU_CYCLE_1)
	s_and_not1_b32 exec_lo, exec_lo, s4
	s_cbranch_execnz .LBB1_112
	s_branch .LBB1_30
.LBB1_113:
                                        ; implicit-def: $vgpr8_vgpr9
	s_cbranch_execnz .LBB1_115
	s_branch .LBB1_142
.LBB1_114:
	s_or_b32 exec_lo, exec_lo, s6
	s_branch .LBB1_142
.LBB1_115:
	v_readfirstlane_b32 s0, v52
	v_mov_b64_e32 v[0:1], 0
	s_delay_alu instid0(VALU_DEP_2)
	v_cmp_eq_u32_e64 s0, s0, v52
	s_and_saveexec_b32 s1, s0
	s_cbranch_execz .LBB1_121
; %bb.116:
	v_mov_b32_e32 v3, 0
	s_mov_b32 s4, exec_lo
	global_load_b64 v[10:11], v3, s[2:3] offset:24 scope:SCOPE_SYS
	s_wait_loadcnt 0x0
	global_inv scope:SCOPE_SYS
	s_clause 0x1
	global_load_b64 v[0:1], v3, s[2:3] offset:40
	global_load_b64 v[4:5], v3, s[2:3]
	s_wait_loadcnt 0x1
	v_and_b32_e32 v0, v0, v10
	v_and_b32_e32 v1, v1, v11
	s_delay_alu instid0(VALU_DEP_1) | instskip(SKIP_1) | instid1(VALU_DEP_1)
	v_mul_u64_e32 v[0:1], 24, v[0:1]
	s_wait_loadcnt 0x0
	v_add_nc_u64_e32 v[0:1], v[4:5], v[0:1]
	global_load_b64 v[8:9], v[0:1], off scope:SCOPE_SYS
	s_wait_xcnt 0x0
	s_wait_loadcnt 0x0
	global_atomic_cmpswap_b64 v[0:1], v3, v[8:11], s[2:3] offset:24 th:TH_ATOMIC_RETURN scope:SCOPE_SYS
	s_wait_loadcnt 0x0
	global_inv scope:SCOPE_SYS
	s_wait_xcnt 0x0
	v_cmpx_ne_u64_e64 v[0:1], v[10:11]
	s_cbranch_execz .LBB1_120
; %bb.117:
	s_mov_b32 s5, 0
.LBB1_118:                              ; =>This Inner Loop Header: Depth=1
	s_sleep 1
	s_clause 0x1
	global_load_b64 v[4:5], v3, s[2:3] offset:40
	global_load_b64 v[8:9], v3, s[2:3]
	v_mov_b64_e32 v[10:11], v[0:1]
	s_wait_loadcnt 0x1
	s_delay_alu instid0(VALU_DEP_1) | instskip(NEXT) | instid1(VALU_DEP_2)
	v_and_b32_e32 v0, v4, v10
	v_and_b32_e32 v4, v5, v11
	s_wait_loadcnt 0x0
	s_delay_alu instid0(VALU_DEP_2) | instskip(NEXT) | instid1(VALU_DEP_1)
	v_mad_nc_u64_u32 v[0:1], v0, 24, v[8:9]
	v_mad_u32 v1, v4, 24, v1
	global_load_b64 v[8:9], v[0:1], off scope:SCOPE_SYS
	s_wait_xcnt 0x0
	s_wait_loadcnt 0x0
	global_atomic_cmpswap_b64 v[0:1], v3, v[8:11], s[2:3] offset:24 th:TH_ATOMIC_RETURN scope:SCOPE_SYS
	s_wait_loadcnt 0x0
	global_inv scope:SCOPE_SYS
	v_cmp_eq_u64_e32 vcc_lo, v[0:1], v[10:11]
	s_or_b32 s5, vcc_lo, s5
	s_wait_xcnt 0x0
	s_and_not1_b32 exec_lo, exec_lo, s5
	s_cbranch_execnz .LBB1_118
; %bb.119:
	s_or_b32 exec_lo, exec_lo, s5
.LBB1_120:
	s_delay_alu instid0(SALU_CYCLE_1)
	s_or_b32 exec_lo, exec_lo, s4
.LBB1_121:
	s_delay_alu instid0(SALU_CYCLE_1)
	s_or_b32 exec_lo, exec_lo, s1
	v_readfirstlane_b32 s4, v0
	v_mov_b32_e32 v35, 0
	v_readfirstlane_b32 s5, v1
	s_mov_b32 s1, exec_lo
	global_load_b64 v[4:5], v35, s[2:3] offset:40
	s_wait_loadcnt 0x1
	global_load_b128 v[8:11], v35, s[2:3]
	s_wait_loadcnt 0x1
	v_and_b32_e32 v4, s4, v4
	v_and_b32_e32 v5, s5, v5
	s_delay_alu instid0(VALU_DEP_1) | instskip(SKIP_1) | instid1(VALU_DEP_1)
	v_mul_u64_e32 v[0:1], 24, v[4:5]
	s_wait_loadcnt 0x0
	v_add_nc_u64_e32 v[0:1], v[8:9], v[0:1]
	s_wait_xcnt 0x0
	s_and_saveexec_b32 s6, s0
	s_cbranch_execz .LBB1_123
; %bb.122:
	v_mov_b64_e32 v[16:17], 0x100000002
	v_dual_mov_b32 v14, s1 :: v_dual_mov_b32 v15, v35
	global_store_b128 v[0:1], v[14:17], off offset:8
.LBB1_123:
	s_wait_xcnt 0x0
	s_or_b32 exec_lo, exec_lo, s6
	v_lshlrev_b64_e32 v[4:5], 12, v[4:5]
	s_mov_b32 s12, 0
	v_and_or_b32 v12, 0xffffff1f, v12, 32
	s_mov_b32 s14, s12
	s_mov_b32 s15, s12
	;; [unrolled: 1-line block ×3, first 2 shown]
	v_mov_b64_e32 v[18:19], s[14:15]
	v_add_nc_u64_e32 v[4:5], v[10:11], v[4:5]
	v_mov_b64_e32 v[16:17], s[12:13]
	v_dual_mov_b32 v14, v35 :: v_dual_mov_b32 v15, v35
	s_delay_alu instid0(VALU_DEP_3) | instskip(NEXT) | instid1(VALU_DEP_4)
	v_readfirstlane_b32 s6, v4
	v_readfirstlane_b32 s7, v5
	s_clause 0x3
	global_store_b128 v34, v[12:15], s[6:7]
	global_store_b128 v34, v[16:19], s[6:7] offset:16
	global_store_b128 v34, v[16:19], s[6:7] offset:32
	global_store_b128 v34, v[16:19], s[6:7] offset:48
	s_wait_xcnt 0x0
	s_and_saveexec_b32 s1, s0
	s_cbranch_execz .LBB1_131
; %bb.124:
	v_dual_mov_b32 v3, 0 :: v_dual_mov_b32 v15, s5
	s_mov_b32 s6, exec_lo
	s_clause 0x1
	global_load_b64 v[16:17], v3, s[2:3] offset:32 scope:SCOPE_SYS
	global_load_b64 v[10:11], v3, s[2:3] offset:40
	s_wait_loadcnt 0x0
	v_dual_mov_b32 v14, s4 :: v_dual_bitop2_b32 v11, s5, v11 bitop3:0x40
	v_and_b32_e32 v10, s4, v10
	s_delay_alu instid0(VALU_DEP_1) | instskip(NEXT) | instid1(VALU_DEP_1)
	v_mul_u64_e32 v[10:11], 24, v[10:11]
	v_add_nc_u64_e32 v[12:13], v[8:9], v[10:11]
	global_store_b64 v[12:13], v[16:17], off
	global_wb scope:SCOPE_SYS
	s_wait_storecnt 0x0
	s_wait_xcnt 0x0
	global_atomic_cmpswap_b64 v[10:11], v3, v[14:17], s[2:3] offset:32 th:TH_ATOMIC_RETURN scope:SCOPE_SYS
	s_wait_loadcnt 0x0
	v_cmpx_ne_u64_e64 v[10:11], v[16:17]
	s_cbranch_execz .LBB1_127
; %bb.125:
	s_mov_b32 s7, 0
.LBB1_126:                              ; =>This Inner Loop Header: Depth=1
	v_dual_mov_b32 v8, s4 :: v_dual_mov_b32 v9, s5
	s_sleep 1
	global_store_b64 v[12:13], v[10:11], off
	global_wb scope:SCOPE_SYS
	s_wait_storecnt 0x0
	s_wait_xcnt 0x0
	global_atomic_cmpswap_b64 v[8:9], v3, v[8:11], s[2:3] offset:32 th:TH_ATOMIC_RETURN scope:SCOPE_SYS
	s_wait_loadcnt 0x0
	v_cmp_eq_u64_e32 vcc_lo, v[8:9], v[10:11]
	v_mov_b64_e32 v[10:11], v[8:9]
	s_or_b32 s7, vcc_lo, s7
	s_delay_alu instid0(SALU_CYCLE_1)
	s_and_not1_b32 exec_lo, exec_lo, s7
	s_cbranch_execnz .LBB1_126
.LBB1_127:
	s_or_b32 exec_lo, exec_lo, s6
	v_mov_b32_e32 v11, 0
	s_mov_b32 s7, exec_lo
	s_mov_b32 s6, exec_lo
	v_mbcnt_lo_u32_b32 v3, s7, 0
	global_load_b64 v[8:9], v11, s[2:3] offset:16
	s_wait_xcnt 0x0
	v_cmpx_eq_u32_e32 0, v3
	s_cbranch_execz .LBB1_129
; %bb.128:
	s_bcnt1_i32_b32 s7, s7
	s_delay_alu instid0(SALU_CYCLE_1)
	v_mov_b32_e32 v10, s7
	global_wb scope:SCOPE_SYS
	s_wait_loadcnt 0x0
	s_wait_storecnt 0x0
	global_atomic_add_u64 v[8:9], v[10:11], off offset:8 scope:SCOPE_SYS
.LBB1_129:
	s_wait_xcnt 0x0
	s_or_b32 exec_lo, exec_lo, s6
	s_wait_loadcnt 0x0
	global_load_b64 v[10:11], v[8:9], off offset:16
	s_wait_loadcnt 0x0
	v_cmp_eq_u64_e32 vcc_lo, 0, v[10:11]
	s_cbranch_vccnz .LBB1_131
; %bb.130:
	global_load_b32 v8, v[8:9], off offset:24
	s_wait_xcnt 0x0
	v_mov_b32_e32 v9, 0
	s_wait_loadcnt 0x0
	v_readfirstlane_b32 s6, v8
	global_wb scope:SCOPE_SYS
	s_wait_storecnt 0x0
	global_store_b64 v[10:11], v[8:9], off scope:SCOPE_SYS
	s_and_b32 m0, s6, 0xffffff
	s_sendmsg sendmsg(MSG_INTERRUPT)
.LBB1_131:
	s_wait_xcnt 0x0
	s_or_b32 exec_lo, exec_lo, s1
	v_add_nc_u64_e32 v[4:5], v[4:5], v[34:35]
	s_branch .LBB1_135
.LBB1_132:                              ;   in Loop: Header=BB1_135 Depth=1
	s_wait_xcnt 0x0
	s_or_b32 exec_lo, exec_lo, s1
	s_delay_alu instid0(VALU_DEP_1)
	v_readfirstlane_b32 s1, v3
	s_cmp_eq_u32 s1, 0
	s_cbranch_scc1 .LBB1_134
; %bb.133:                              ;   in Loop: Header=BB1_135 Depth=1
	s_sleep 1
	s_cbranch_execnz .LBB1_135
	s_branch .LBB1_137
.LBB1_134:
	s_branch .LBB1_137
.LBB1_135:                              ; =>This Inner Loop Header: Depth=1
	v_mov_b32_e32 v3, 1
	s_and_saveexec_b32 s1, s0
	s_cbranch_execz .LBB1_132
; %bb.136:                              ;   in Loop: Header=BB1_135 Depth=1
	global_load_b32 v3, v[0:1], off offset:20 scope:SCOPE_SYS
	s_wait_loadcnt 0x0
	global_inv scope:SCOPE_SYS
	v_and_b32_e32 v3, 1, v3
	s_branch .LBB1_132
.LBB1_137:
	global_load_b64 v[8:9], v[4:5], off
	s_wait_xcnt 0x0
	s_and_saveexec_b32 s6, s0
	s_cbranch_execz .LBB1_141
; %bb.138:
	v_mov_b32_e32 v3, 0
	s_clause 0x2
	global_load_b64 v[0:1], v3, s[2:3] offset:40
	global_load_b64 v[14:15], v3, s[2:3] offset:24 scope:SCOPE_SYS
	global_load_b64 v[4:5], v3, s[2:3]
	s_wait_loadcnt 0x2
	v_readfirstlane_b32 s10, v0
	v_readfirstlane_b32 s11, v1
	s_add_nc_u64 s[0:1], s[10:11], 1
	s_delay_alu instid0(SALU_CYCLE_1) | instskip(NEXT) | instid1(SALU_CYCLE_1)
	s_add_nc_u64 s[4:5], s[0:1], s[4:5]
	s_cmp_eq_u64 s[4:5], 0
	s_cselect_b32 s1, s1, s5
	s_cselect_b32 s0, s0, s4
	v_mov_b32_e32 v13, s1
	s_and_b64 s[4:5], s[0:1], s[10:11]
	v_mov_b32_e32 v12, s0
	s_mul_u64 s[4:5], s[4:5], 24
	s_wait_loadcnt 0x0
	v_add_nc_u64_e32 v[0:1], s[4:5], v[4:5]
	global_store_b64 v[0:1], v[14:15], off
	global_wb scope:SCOPE_SYS
	s_wait_storecnt 0x0
	s_wait_xcnt 0x0
	global_atomic_cmpswap_b64 v[12:13], v3, v[12:15], s[2:3] offset:24 th:TH_ATOMIC_RETURN scope:SCOPE_SYS
	s_wait_loadcnt 0x0
	v_cmp_ne_u64_e32 vcc_lo, v[12:13], v[14:15]
	s_and_b32 exec_lo, exec_lo, vcc_lo
	s_cbranch_execz .LBB1_141
; %bb.139:
	s_mov_b32 s4, 0
.LBB1_140:                              ; =>This Inner Loop Header: Depth=1
	v_dual_mov_b32 v10, s0 :: v_dual_mov_b32 v11, s1
	s_sleep 1
	global_store_b64 v[0:1], v[12:13], off
	global_wb scope:SCOPE_SYS
	s_wait_storecnt 0x0
	s_wait_xcnt 0x0
	global_atomic_cmpswap_b64 v[4:5], v3, v[10:13], s[2:3] offset:24 th:TH_ATOMIC_RETURN scope:SCOPE_SYS
	s_wait_loadcnt 0x0
	v_cmp_eq_u64_e32 vcc_lo, v[4:5], v[12:13]
	v_mov_b64_e32 v[12:13], v[4:5]
	s_or_b32 s4, vcc_lo, s4
	s_delay_alu instid0(SALU_CYCLE_1)
	s_and_not1_b32 exec_lo, exec_lo, s4
	s_cbranch_execnz .LBB1_140
.LBB1_141:
	s_or_b32 exec_lo, exec_lo, s6
.LBB1_142:
	s_get_pc_i64 s[0:1]
	s_add_nc_u64 s[0:1], s[0:1], .str.1@rel64+4
.LBB1_143:                              ; =>This Inner Loop Header: Depth=1
	s_load_u8 s4, s[0:1], 0x0
	s_wait_xcnt 0x0
	s_add_nc_u64 s[0:1], s[0:1], 1
	s_wait_kmcnt 0x0
	s_cmp_lg_u32 s4, 0
	s_cbranch_scc1 .LBB1_143
; %bb.144:
	s_get_pc_i64 s[4:5]
	s_add_nc_u64 s[4:5], s[4:5], .str.1@rel64+4
	s_delay_alu instid0(SALU_CYCLE_1)
	s_cmp_lg_u64 s[4:5], 0
	s_cbranch_scc0 .LBB1_222
; %bb.145:
	v_mov_b64_e32 v[16:17], 0x100000002
	s_wait_loadcnt 0x0
	v_dual_mov_b32 v15, 0 :: v_dual_bitop2_b32 v0, 2, v8 bitop3:0x40
	v_dual_mov_b32 v11, v9 :: v_dual_bitop2_b32 v10, -3, v8 bitop3:0x40
	s_sub_co_i32 s6, s0, s4
	s_delay_alu instid0(SALU_CYCLE_1)
	s_ashr_i32 s7, s6, 31
	s_branch .LBB1_147
.LBB1_146:                              ;   in Loop: Header=BB1_147 Depth=1
	s_or_b32 exec_lo, exec_lo, s14
	s_sub_nc_u64 s[6:7], s[6:7], s[10:11]
	s_add_nc_u64 s[4:5], s[4:5], s[10:11]
	s_cmp_lg_u64 s[6:7], 0
	s_cbranch_scc0 .LBB1_223
.LBB1_147:                              ; =>This Loop Header: Depth=1
                                        ;     Child Loop BB1_150 Depth 2
                                        ;     Child Loop BB1_157 Depth 2
                                        ;     Child Loop BB1_164 Depth 2
                                        ;     Child Loop BB1_171 Depth 2
                                        ;     Child Loop BB1_178 Depth 2
                                        ;     Child Loop BB1_185 Depth 2
                                        ;     Child Loop BB1_192 Depth 2
                                        ;     Child Loop BB1_199 Depth 2
                                        ;     Child Loop BB1_207 Depth 2
                                        ;     Child Loop BB1_216 Depth 2
                                        ;     Child Loop BB1_221 Depth 2
	v_min_u64 v[4:5], s[6:7], 56
	v_cmp_gt_u64_e64 s0, s[6:7], 7
	s_and_b32 vcc_lo, exec_lo, s0
	v_readfirstlane_b32 s10, v4
	v_readfirstlane_b32 s11, v5
	s_cbranch_vccnz .LBB1_152
; %bb.148:                              ;   in Loop: Header=BB1_147 Depth=1
	v_mov_b64_e32 v[12:13], 0
	s_cmp_eq_u64 s[6:7], 0
	s_cbranch_scc1 .LBB1_151
; %bb.149:                              ;   in Loop: Header=BB1_147 Depth=1
	s_mov_b64 s[0:1], 0
	s_mov_b64 s[12:13], 0
.LBB1_150:                              ;   Parent Loop BB1_147 Depth=1
                                        ; =>  This Inner Loop Header: Depth=2
	s_wait_xcnt 0x0
	s_add_nc_u64 s[14:15], s[4:5], s[12:13]
	s_add_nc_u64 s[12:13], s[12:13], 1
	global_load_u8 v1, v15, s[14:15]
	s_cmp_lg_u32 s10, s12
	s_wait_loadcnt 0x0
	v_and_b32_e32 v14, 0xffff, v1
	s_delay_alu instid0(VALU_DEP_1) | instskip(SKIP_1) | instid1(VALU_DEP_1)
	v_lshlrev_b64_e32 v[4:5], s0, v[14:15]
	s_add_nc_u64 s[0:1], s[0:1], 8
	v_or_b32_e32 v12, v4, v12
	s_delay_alu instid0(VALU_DEP_2)
	v_or_b32_e32 v13, v5, v13
	s_cbranch_scc1 .LBB1_150
.LBB1_151:                              ;   in Loop: Header=BB1_147 Depth=1
	s_mov_b64 s[12:13], s[4:5]
	s_mov_b32 s16, 0
	s_cbranch_execz .LBB1_153
	s_branch .LBB1_154
.LBB1_152:                              ;   in Loop: Header=BB1_147 Depth=1
	s_add_nc_u64 s[12:13], s[4:5], 8
	s_mov_b32 s16, 0
.LBB1_153:                              ;   in Loop: Header=BB1_147 Depth=1
	global_load_b64 v[12:13], v15, s[4:5]
	s_add_co_i32 s16, s10, -8
.LBB1_154:                              ;   in Loop: Header=BB1_147 Depth=1
	s_delay_alu instid0(SALU_CYCLE_1)
	s_cmp_gt_u32 s16, 7
	s_cbranch_scc1 .LBB1_159
; %bb.155:                              ;   in Loop: Header=BB1_147 Depth=1
	v_mov_b64_e32 v[18:19], 0
	s_cmp_eq_u32 s16, 0
	s_cbranch_scc1 .LBB1_158
; %bb.156:                              ;   in Loop: Header=BB1_147 Depth=1
	s_mov_b64 s[0:1], 0
	s_wait_xcnt 0x0
	s_mov_b64 s[14:15], 0
.LBB1_157:                              ;   Parent Loop BB1_147 Depth=1
                                        ; =>  This Inner Loop Header: Depth=2
	s_wait_xcnt 0x0
	s_add_nc_u64 s[18:19], s[12:13], s[14:15]
	s_add_nc_u64 s[14:15], s[14:15], 1
	global_load_u8 v1, v15, s[18:19]
	s_cmp_lg_u32 s16, s14
	s_wait_loadcnt 0x0
	v_and_b32_e32 v14, 0xffff, v1
	s_delay_alu instid0(VALU_DEP_1) | instskip(SKIP_1) | instid1(VALU_DEP_1)
	v_lshlrev_b64_e32 v[4:5], s0, v[14:15]
	s_add_nc_u64 s[0:1], s[0:1], 8
	v_or_b32_e32 v18, v4, v18
	s_delay_alu instid0(VALU_DEP_2)
	v_or_b32_e32 v19, v5, v19
	s_cbranch_scc1 .LBB1_157
.LBB1_158:                              ;   in Loop: Header=BB1_147 Depth=1
	s_wait_xcnt 0x0
	s_mov_b64 s[0:1], s[12:13]
	s_mov_b32 s17, 0
	s_cbranch_execz .LBB1_160
	s_branch .LBB1_161
.LBB1_159:                              ;   in Loop: Header=BB1_147 Depth=1
	s_add_nc_u64 s[0:1], s[12:13], 8
	s_wait_xcnt 0x0
                                        ; implicit-def: $vgpr18_vgpr19
	s_mov_b32 s17, 0
.LBB1_160:                              ;   in Loop: Header=BB1_147 Depth=1
	global_load_b64 v[18:19], v15, s[12:13]
	s_add_co_i32 s17, s16, -8
.LBB1_161:                              ;   in Loop: Header=BB1_147 Depth=1
	s_delay_alu instid0(SALU_CYCLE_1)
	s_cmp_gt_u32 s17, 7
	s_cbranch_scc1 .LBB1_166
; %bb.162:                              ;   in Loop: Header=BB1_147 Depth=1
	v_mov_b64_e32 v[20:21], 0
	s_cmp_eq_u32 s17, 0
	s_cbranch_scc1 .LBB1_165
; %bb.163:                              ;   in Loop: Header=BB1_147 Depth=1
	s_wait_xcnt 0x0
	s_mov_b64 s[12:13], 0
	s_mov_b64 s[14:15], 0
.LBB1_164:                              ;   Parent Loop BB1_147 Depth=1
                                        ; =>  This Inner Loop Header: Depth=2
	s_wait_xcnt 0x0
	s_add_nc_u64 s[18:19], s[0:1], s[14:15]
	s_add_nc_u64 s[14:15], s[14:15], 1
	global_load_u8 v1, v15, s[18:19]
	s_cmp_lg_u32 s17, s14
	s_wait_loadcnt 0x0
	v_and_b32_e32 v14, 0xffff, v1
	s_delay_alu instid0(VALU_DEP_1) | instskip(SKIP_1) | instid1(VALU_DEP_1)
	v_lshlrev_b64_e32 v[4:5], s12, v[14:15]
	s_add_nc_u64 s[12:13], s[12:13], 8
	v_or_b32_e32 v20, v4, v20
	s_delay_alu instid0(VALU_DEP_2)
	v_or_b32_e32 v21, v5, v21
	s_cbranch_scc1 .LBB1_164
.LBB1_165:                              ;   in Loop: Header=BB1_147 Depth=1
	s_wait_xcnt 0x0
	s_mov_b64 s[12:13], s[0:1]
	s_mov_b32 s16, 0
	s_cbranch_execz .LBB1_167
	s_branch .LBB1_168
.LBB1_166:                              ;   in Loop: Header=BB1_147 Depth=1
	s_wait_xcnt 0x0
	s_add_nc_u64 s[12:13], s[0:1], 8
	s_mov_b32 s16, 0
.LBB1_167:                              ;   in Loop: Header=BB1_147 Depth=1
	global_load_b64 v[20:21], v15, s[0:1]
	s_add_co_i32 s16, s17, -8
.LBB1_168:                              ;   in Loop: Header=BB1_147 Depth=1
	s_delay_alu instid0(SALU_CYCLE_1)
	s_cmp_gt_u32 s16, 7
	s_cbranch_scc1 .LBB1_173
; %bb.169:                              ;   in Loop: Header=BB1_147 Depth=1
	v_mov_b64_e32 v[22:23], 0
	s_cmp_eq_u32 s16, 0
	s_cbranch_scc1 .LBB1_172
; %bb.170:                              ;   in Loop: Header=BB1_147 Depth=1
	s_wait_xcnt 0x0
	s_mov_b64 s[0:1], 0
	s_mov_b64 s[14:15], 0
.LBB1_171:                              ;   Parent Loop BB1_147 Depth=1
                                        ; =>  This Inner Loop Header: Depth=2
	s_wait_xcnt 0x0
	s_add_nc_u64 s[18:19], s[12:13], s[14:15]
	s_add_nc_u64 s[14:15], s[14:15], 1
	global_load_u8 v1, v15, s[18:19]
	s_cmp_lg_u32 s16, s14
	s_wait_loadcnt 0x0
	v_and_b32_e32 v14, 0xffff, v1
	s_delay_alu instid0(VALU_DEP_1) | instskip(SKIP_1) | instid1(VALU_DEP_1)
	v_lshlrev_b64_e32 v[4:5], s0, v[14:15]
	s_add_nc_u64 s[0:1], s[0:1], 8
	v_or_b32_e32 v22, v4, v22
	s_delay_alu instid0(VALU_DEP_2)
	v_or_b32_e32 v23, v5, v23
	s_cbranch_scc1 .LBB1_171
.LBB1_172:                              ;   in Loop: Header=BB1_147 Depth=1
	s_wait_xcnt 0x0
	s_mov_b64 s[0:1], s[12:13]
	s_mov_b32 s17, 0
	s_cbranch_execz .LBB1_174
	s_branch .LBB1_175
.LBB1_173:                              ;   in Loop: Header=BB1_147 Depth=1
	s_wait_xcnt 0x0
	s_add_nc_u64 s[0:1], s[12:13], 8
                                        ; implicit-def: $vgpr22_vgpr23
	s_mov_b32 s17, 0
.LBB1_174:                              ;   in Loop: Header=BB1_147 Depth=1
	global_load_b64 v[22:23], v15, s[12:13]
	s_add_co_i32 s17, s16, -8
.LBB1_175:                              ;   in Loop: Header=BB1_147 Depth=1
	s_delay_alu instid0(SALU_CYCLE_1)
	s_cmp_gt_u32 s17, 7
	s_cbranch_scc1 .LBB1_180
; %bb.176:                              ;   in Loop: Header=BB1_147 Depth=1
	v_mov_b64_e32 v[24:25], 0
	s_cmp_eq_u32 s17, 0
	s_cbranch_scc1 .LBB1_179
; %bb.177:                              ;   in Loop: Header=BB1_147 Depth=1
	s_wait_xcnt 0x0
	s_mov_b64 s[12:13], 0
	s_mov_b64 s[14:15], 0
.LBB1_178:                              ;   Parent Loop BB1_147 Depth=1
                                        ; =>  This Inner Loop Header: Depth=2
	s_wait_xcnt 0x0
	s_add_nc_u64 s[18:19], s[0:1], s[14:15]
	s_add_nc_u64 s[14:15], s[14:15], 1
	global_load_u8 v1, v15, s[18:19]
	s_cmp_lg_u32 s17, s14
	s_wait_loadcnt 0x0
	v_and_b32_e32 v14, 0xffff, v1
	s_delay_alu instid0(VALU_DEP_1) | instskip(SKIP_1) | instid1(VALU_DEP_1)
	v_lshlrev_b64_e32 v[4:5], s12, v[14:15]
	s_add_nc_u64 s[12:13], s[12:13], 8
	v_or_b32_e32 v24, v4, v24
	s_delay_alu instid0(VALU_DEP_2)
	v_or_b32_e32 v25, v5, v25
	s_cbranch_scc1 .LBB1_178
.LBB1_179:                              ;   in Loop: Header=BB1_147 Depth=1
	s_wait_xcnt 0x0
	s_mov_b64 s[12:13], s[0:1]
	s_mov_b32 s16, 0
	s_cbranch_execz .LBB1_181
	s_branch .LBB1_182
.LBB1_180:                              ;   in Loop: Header=BB1_147 Depth=1
	s_wait_xcnt 0x0
	s_add_nc_u64 s[12:13], s[0:1], 8
	s_mov_b32 s16, 0
.LBB1_181:                              ;   in Loop: Header=BB1_147 Depth=1
	global_load_b64 v[24:25], v15, s[0:1]
	s_add_co_i32 s16, s17, -8
.LBB1_182:                              ;   in Loop: Header=BB1_147 Depth=1
	s_delay_alu instid0(SALU_CYCLE_1)
	s_cmp_gt_u32 s16, 7
	s_cbranch_scc1 .LBB1_187
; %bb.183:                              ;   in Loop: Header=BB1_147 Depth=1
	v_mov_b64_e32 v[26:27], 0
	s_cmp_eq_u32 s16, 0
	s_cbranch_scc1 .LBB1_186
; %bb.184:                              ;   in Loop: Header=BB1_147 Depth=1
	s_wait_xcnt 0x0
	s_mov_b64 s[0:1], 0
	s_mov_b64 s[14:15], 0
.LBB1_185:                              ;   Parent Loop BB1_147 Depth=1
                                        ; =>  This Inner Loop Header: Depth=2
	s_wait_xcnt 0x0
	s_add_nc_u64 s[18:19], s[12:13], s[14:15]
	s_add_nc_u64 s[14:15], s[14:15], 1
	global_load_u8 v1, v15, s[18:19]
	s_cmp_lg_u32 s16, s14
	s_wait_loadcnt 0x0
	v_and_b32_e32 v14, 0xffff, v1
	s_delay_alu instid0(VALU_DEP_1) | instskip(SKIP_1) | instid1(VALU_DEP_1)
	v_lshlrev_b64_e32 v[4:5], s0, v[14:15]
	s_add_nc_u64 s[0:1], s[0:1], 8
	v_or_b32_e32 v26, v4, v26
	s_delay_alu instid0(VALU_DEP_2)
	v_or_b32_e32 v27, v5, v27
	s_cbranch_scc1 .LBB1_185
.LBB1_186:                              ;   in Loop: Header=BB1_147 Depth=1
	s_wait_xcnt 0x0
	s_mov_b64 s[0:1], s[12:13]
	s_mov_b32 s17, 0
	s_cbranch_execz .LBB1_188
	s_branch .LBB1_189
.LBB1_187:                              ;   in Loop: Header=BB1_147 Depth=1
	s_wait_xcnt 0x0
	s_add_nc_u64 s[0:1], s[12:13], 8
                                        ; implicit-def: $vgpr26_vgpr27
	s_mov_b32 s17, 0
.LBB1_188:                              ;   in Loop: Header=BB1_147 Depth=1
	global_load_b64 v[26:27], v15, s[12:13]
	s_add_co_i32 s17, s16, -8
.LBB1_189:                              ;   in Loop: Header=BB1_147 Depth=1
	s_delay_alu instid0(SALU_CYCLE_1)
	s_cmp_gt_u32 s17, 7
	s_cbranch_scc1 .LBB1_194
; %bb.190:                              ;   in Loop: Header=BB1_147 Depth=1
	v_mov_b64_e32 v[28:29], 0
	s_cmp_eq_u32 s17, 0
	s_cbranch_scc1 .LBB1_193
; %bb.191:                              ;   in Loop: Header=BB1_147 Depth=1
	s_wait_xcnt 0x0
	s_mov_b64 s[12:13], 0
	s_mov_b64 s[14:15], s[0:1]
.LBB1_192:                              ;   Parent Loop BB1_147 Depth=1
                                        ; =>  This Inner Loop Header: Depth=2
	global_load_u8 v1, v15, s[14:15]
	s_add_co_i32 s17, s17, -1
	s_wait_xcnt 0x0
	s_add_nc_u64 s[14:15], s[14:15], 1
	s_cmp_lg_u32 s17, 0
	s_wait_loadcnt 0x0
	v_and_b32_e32 v14, 0xffff, v1
	s_delay_alu instid0(VALU_DEP_1) | instskip(SKIP_1) | instid1(VALU_DEP_1)
	v_lshlrev_b64_e32 v[4:5], s12, v[14:15]
	s_add_nc_u64 s[12:13], s[12:13], 8
	v_or_b32_e32 v28, v4, v28
	s_delay_alu instid0(VALU_DEP_2)
	v_or_b32_e32 v29, v5, v29
	s_cbranch_scc1 .LBB1_192
.LBB1_193:                              ;   in Loop: Header=BB1_147 Depth=1
	s_wait_xcnt 0x0
	s_cbranch_execz .LBB1_195
	s_branch .LBB1_196
.LBB1_194:                              ;   in Loop: Header=BB1_147 Depth=1
	s_wait_xcnt 0x0
.LBB1_195:                              ;   in Loop: Header=BB1_147 Depth=1
	global_load_b64 v[28:29], v15, s[0:1]
.LBB1_196:                              ;   in Loop: Header=BB1_147 Depth=1
	s_wait_xcnt 0x0
	v_readfirstlane_b32 s0, v52
	v_mov_b64_e32 v[4:5], 0
	s_delay_alu instid0(VALU_DEP_2)
	v_cmp_eq_u32_e64 s0, s0, v52
	s_and_saveexec_b32 s1, s0
	s_cbranch_execz .LBB1_202
; %bb.197:                              ;   in Loop: Header=BB1_147 Depth=1
	global_load_b64 v[32:33], v15, s[2:3] offset:24 scope:SCOPE_SYS
	s_wait_loadcnt 0x0
	global_inv scope:SCOPE_SYS
	s_clause 0x1
	global_load_b64 v[4:5], v15, s[2:3] offset:40
	global_load_b64 v[30:31], v15, s[2:3]
	s_mov_b32 s12, exec_lo
	s_wait_loadcnt 0x1
	v_and_b32_e32 v4, v4, v32
	v_and_b32_e32 v5, v5, v33
	s_delay_alu instid0(VALU_DEP_1) | instskip(SKIP_1) | instid1(VALU_DEP_1)
	v_mul_u64_e32 v[4:5], 24, v[4:5]
	s_wait_loadcnt 0x0
	v_add_nc_u64_e32 v[4:5], v[30:31], v[4:5]
	global_load_b64 v[30:31], v[4:5], off scope:SCOPE_SYS
	s_wait_xcnt 0x0
	s_wait_loadcnt 0x0
	global_atomic_cmpswap_b64 v[4:5], v15, v[30:33], s[2:3] offset:24 th:TH_ATOMIC_RETURN scope:SCOPE_SYS
	s_wait_loadcnt 0x0
	global_inv scope:SCOPE_SYS
	s_wait_xcnt 0x0
	v_cmpx_ne_u64_e64 v[4:5], v[32:33]
	s_cbranch_execz .LBB1_201
; %bb.198:                              ;   in Loop: Header=BB1_147 Depth=1
	s_mov_b32 s13, 0
.LBB1_199:                              ;   Parent Loop BB1_147 Depth=1
                                        ; =>  This Inner Loop Header: Depth=2
	s_sleep 1
	s_clause 0x1
	global_load_b64 v[30:31], v15, s[2:3] offset:40
	global_load_b64 v[38:39], v15, s[2:3]
	v_mov_b64_e32 v[32:33], v[4:5]
	s_wait_loadcnt 0x1
	s_delay_alu instid0(VALU_DEP_1) | instskip(SKIP_1) | instid1(VALU_DEP_1)
	v_and_b32_e32 v1, v30, v32
	s_wait_loadcnt 0x0
	v_mad_nc_u64_u32 v[4:5], v1, 24, v[38:39]
	s_delay_alu instid0(VALU_DEP_3) | instskip(NEXT) | instid1(VALU_DEP_1)
	v_and_b32_e32 v1, v31, v33
	v_mad_u32 v5, v1, 24, v5
	global_load_b64 v[30:31], v[4:5], off scope:SCOPE_SYS
	s_wait_xcnt 0x0
	s_wait_loadcnt 0x0
	global_atomic_cmpswap_b64 v[4:5], v15, v[30:33], s[2:3] offset:24 th:TH_ATOMIC_RETURN scope:SCOPE_SYS
	s_wait_loadcnt 0x0
	global_inv scope:SCOPE_SYS
	v_cmp_eq_u64_e32 vcc_lo, v[4:5], v[32:33]
	s_or_b32 s13, vcc_lo, s13
	s_wait_xcnt 0x0
	s_and_not1_b32 exec_lo, exec_lo, s13
	s_cbranch_execnz .LBB1_199
; %bb.200:                              ;   in Loop: Header=BB1_147 Depth=1
	s_or_b32 exec_lo, exec_lo, s13
.LBB1_201:                              ;   in Loop: Header=BB1_147 Depth=1
	s_delay_alu instid0(SALU_CYCLE_1)
	s_or_b32 exec_lo, exec_lo, s12
.LBB1_202:                              ;   in Loop: Header=BB1_147 Depth=1
	s_delay_alu instid0(SALU_CYCLE_1)
	s_or_b32 exec_lo, exec_lo, s1
	s_clause 0x1
	global_load_b64 v[38:39], v15, s[2:3] offset:40
	global_load_b128 v[30:33], v15, s[2:3]
	v_readfirstlane_b32 s12, v4
	v_readfirstlane_b32 s13, v5
	s_mov_b32 s1, exec_lo
	s_wait_loadcnt 0x1
	v_and_b32_e32 v38, s12, v38
	v_and_b32_e32 v39, s13, v39
	s_delay_alu instid0(VALU_DEP_1) | instskip(SKIP_1) | instid1(VALU_DEP_1)
	v_mul_u64_e32 v[4:5], 24, v[38:39]
	s_wait_loadcnt 0x0
	v_add_nc_u64_e32 v[4:5], v[30:31], v[4:5]
	s_wait_xcnt 0x0
	s_and_saveexec_b32 s14, s0
	s_cbranch_execz .LBB1_204
; %bb.203:                              ;   in Loop: Header=BB1_147 Depth=1
	v_mov_b32_e32 v14, s1
	global_store_b128 v[4:5], v[14:17], off offset:8
.LBB1_204:                              ;   in Loop: Header=BB1_147 Depth=1
	s_wait_xcnt 0x0
	s_or_b32 exec_lo, exec_lo, s14
	v_cmp_lt_u64_e64 vcc_lo, s[6:7], 57
	v_lshlrev_b64_e32 v[38:39], 12, v[38:39]
	v_and_b32_e32 v3, 0xffffff1f, v10
	s_lshl_b32 s1, s10, 2
	s_delay_alu instid0(SALU_CYCLE_1) | instskip(SKIP_1) | instid1(VALU_DEP_3)
	s_add_co_i32 s1, s1, 28
	v_cndmask_b32_e32 v1, 0, v0, vcc_lo
	v_add_nc_u64_e32 v[32:33], v[32:33], v[38:39]
	s_delay_alu instid0(VALU_DEP_2) | instskip(NEXT) | instid1(VALU_DEP_2)
	v_or_b32_e32 v1, v3, v1
	v_readfirstlane_b32 s14, v32
	s_delay_alu instid0(VALU_DEP_3) | instskip(NEXT) | instid1(VALU_DEP_3)
	v_readfirstlane_b32 s15, v33
	v_and_or_b32 v10, 0x1e0, s1, v1
	s_clause 0x3
	global_store_b128 v34, v[10:13], s[14:15]
	global_store_b128 v34, v[18:21], s[14:15] offset:16
	global_store_b128 v34, v[22:25], s[14:15] offset:32
	;; [unrolled: 1-line block ×3, first 2 shown]
	s_wait_xcnt 0x0
	s_and_saveexec_b32 s1, s0
	s_cbranch_execz .LBB1_212
; %bb.205:                              ;   in Loop: Header=BB1_147 Depth=1
	s_clause 0x1
	global_load_b64 v[22:23], v15, s[2:3] offset:32 scope:SCOPE_SYS
	global_load_b64 v[10:11], v15, s[2:3] offset:40
	s_mov_b32 s14, exec_lo
	v_dual_mov_b32 v20, s12 :: v_dual_mov_b32 v21, s13
	s_wait_loadcnt 0x0
	v_and_b32_e32 v11, s13, v11
	v_and_b32_e32 v10, s12, v10
	s_delay_alu instid0(VALU_DEP_1) | instskip(NEXT) | instid1(VALU_DEP_1)
	v_mul_u64_e32 v[10:11], 24, v[10:11]
	v_add_nc_u64_e32 v[18:19], v[30:31], v[10:11]
	global_store_b64 v[18:19], v[22:23], off
	global_wb scope:SCOPE_SYS
	s_wait_storecnt 0x0
	s_wait_xcnt 0x0
	global_atomic_cmpswap_b64 v[12:13], v15, v[20:23], s[2:3] offset:32 th:TH_ATOMIC_RETURN scope:SCOPE_SYS
	s_wait_loadcnt 0x0
	s_wait_xcnt 0x0
	v_cmpx_ne_u64_e64 v[12:13], v[22:23]
	s_cbranch_execz .LBB1_208
; %bb.206:                              ;   in Loop: Header=BB1_147 Depth=1
	s_mov_b32 s15, 0
.LBB1_207:                              ;   Parent Loop BB1_147 Depth=1
                                        ; =>  This Inner Loop Header: Depth=2
	v_dual_mov_b32 v10, s12 :: v_dual_mov_b32 v11, s13
	s_sleep 1
	global_store_b64 v[18:19], v[12:13], off
	global_wb scope:SCOPE_SYS
	s_wait_storecnt 0x0
	s_wait_xcnt 0x0
	global_atomic_cmpswap_b64 v[10:11], v15, v[10:13], s[2:3] offset:32 th:TH_ATOMIC_RETURN scope:SCOPE_SYS
	s_wait_loadcnt 0x0
	v_cmp_eq_u64_e32 vcc_lo, v[10:11], v[12:13]
	s_wait_xcnt 0x0
	v_mov_b64_e32 v[12:13], v[10:11]
	s_or_b32 s15, vcc_lo, s15
	s_delay_alu instid0(SALU_CYCLE_1)
	s_and_not1_b32 exec_lo, exec_lo, s15
	s_cbranch_execnz .LBB1_207
.LBB1_208:                              ;   in Loop: Header=BB1_147 Depth=1
	s_or_b32 exec_lo, exec_lo, s14
	global_load_b64 v[10:11], v15, s[2:3] offset:16
	s_mov_b32 s15, exec_lo
	s_mov_b32 s14, exec_lo
	v_mbcnt_lo_u32_b32 v1, s15, 0
	s_wait_xcnt 0x0
	s_delay_alu instid0(VALU_DEP_1)
	v_cmpx_eq_u32_e32 0, v1
	s_cbranch_execz .LBB1_210
; %bb.209:                              ;   in Loop: Header=BB1_147 Depth=1
	s_bcnt1_i32_b32 s15, s15
	s_delay_alu instid0(SALU_CYCLE_1)
	v_mov_b32_e32 v14, s15
	global_wb scope:SCOPE_SYS
	s_wait_loadcnt 0x0
	s_wait_storecnt 0x0
	global_atomic_add_u64 v[10:11], v[14:15], off offset:8 scope:SCOPE_SYS
.LBB1_210:                              ;   in Loop: Header=BB1_147 Depth=1
	s_wait_xcnt 0x0
	s_or_b32 exec_lo, exec_lo, s14
	s_wait_loadcnt 0x0
	global_load_b64 v[12:13], v[10:11], off offset:16
	s_wait_loadcnt 0x0
	v_cmp_eq_u64_e32 vcc_lo, 0, v[12:13]
	s_cbranch_vccnz .LBB1_212
; %bb.211:                              ;   in Loop: Header=BB1_147 Depth=1
	global_load_b32 v14, v[10:11], off offset:24
	s_wait_loadcnt 0x0
	v_readfirstlane_b32 s14, v14
	global_wb scope:SCOPE_SYS
	s_wait_storecnt 0x0
	s_wait_xcnt 0x0
	global_store_b64 v[12:13], v[14:15], off scope:SCOPE_SYS
	s_and_b32 m0, s14, 0xffffff
	s_sendmsg sendmsg(MSG_INTERRUPT)
.LBB1_212:                              ;   in Loop: Header=BB1_147 Depth=1
	s_wait_xcnt 0x0
	s_or_b32 exec_lo, exec_lo, s1
	v_mov_b32_e32 v35, v15
	s_delay_alu instid0(VALU_DEP_1)
	v_add_nc_u64_e32 v[10:11], v[32:33], v[34:35]
	s_branch .LBB1_216
.LBB1_213:                              ;   in Loop: Header=BB1_216 Depth=2
	s_wait_xcnt 0x0
	s_or_b32 exec_lo, exec_lo, s1
	s_delay_alu instid0(VALU_DEP_1)
	v_readfirstlane_b32 s1, v1
	s_cmp_eq_u32 s1, 0
	s_cbranch_scc1 .LBB1_215
; %bb.214:                              ;   in Loop: Header=BB1_216 Depth=2
	s_sleep 1
	s_cbranch_execnz .LBB1_216
	s_branch .LBB1_218
.LBB1_215:                              ;   in Loop: Header=BB1_147 Depth=1
	s_branch .LBB1_218
.LBB1_216:                              ;   Parent Loop BB1_147 Depth=1
                                        ; =>  This Inner Loop Header: Depth=2
	v_mov_b32_e32 v1, 1
	s_and_saveexec_b32 s1, s0
	s_cbranch_execz .LBB1_213
; %bb.217:                              ;   in Loop: Header=BB1_216 Depth=2
	global_load_b32 v1, v[4:5], off offset:20 scope:SCOPE_SYS
	s_wait_loadcnt 0x0
	global_inv scope:SCOPE_SYS
	v_and_b32_e32 v1, 1, v1
	s_branch .LBB1_213
.LBB1_218:                              ;   in Loop: Header=BB1_147 Depth=1
	global_load_b64 v[10:11], v[10:11], off
	s_wait_xcnt 0x0
	s_and_saveexec_b32 s14, s0
	s_cbranch_execz .LBB1_146
; %bb.219:                              ;   in Loop: Header=BB1_147 Depth=1
	s_clause 0x2
	global_load_b64 v[4:5], v15, s[2:3] offset:40
	global_load_b64 v[22:23], v15, s[2:3] offset:24 scope:SCOPE_SYS
	global_load_b64 v[12:13], v15, s[2:3]
	s_wait_loadcnt 0x2
	v_readfirstlane_b32 s16, v4
	v_readfirstlane_b32 s17, v5
	s_add_nc_u64 s[0:1], s[16:17], 1
	s_delay_alu instid0(SALU_CYCLE_1) | instskip(NEXT) | instid1(SALU_CYCLE_1)
	s_add_nc_u64 s[12:13], s[0:1], s[12:13]
	s_cmp_eq_u64 s[12:13], 0
	s_cselect_b32 s1, s1, s13
	s_cselect_b32 s0, s0, s12
	s_delay_alu instid0(SALU_CYCLE_1) | instskip(SKIP_1) | instid1(SALU_CYCLE_1)
	v_dual_mov_b32 v21, s1 :: v_dual_mov_b32 v20, s0
	s_and_b64 s[12:13], s[0:1], s[16:17]
	s_mul_u64 s[12:13], s[12:13], 24
	s_wait_loadcnt 0x0
	v_add_nc_u64_e32 v[4:5], s[12:13], v[12:13]
	global_store_b64 v[4:5], v[22:23], off
	global_wb scope:SCOPE_SYS
	s_wait_storecnt 0x0
	s_wait_xcnt 0x0
	global_atomic_cmpswap_b64 v[20:21], v15, v[20:23], s[2:3] offset:24 th:TH_ATOMIC_RETURN scope:SCOPE_SYS
	s_wait_loadcnt 0x0
	v_cmp_ne_u64_e32 vcc_lo, v[20:21], v[22:23]
	s_and_b32 exec_lo, exec_lo, vcc_lo
	s_cbranch_execz .LBB1_146
; %bb.220:                              ;   in Loop: Header=BB1_147 Depth=1
	s_mov_b32 s12, 0
.LBB1_221:                              ;   Parent Loop BB1_147 Depth=1
                                        ; =>  This Inner Loop Header: Depth=2
	v_dual_mov_b32 v18, s0 :: v_dual_mov_b32 v19, s1
	s_sleep 1
	global_store_b64 v[4:5], v[20:21], off
	global_wb scope:SCOPE_SYS
	s_wait_storecnt 0x0
	s_wait_xcnt 0x0
	global_atomic_cmpswap_b64 v[12:13], v15, v[18:21], s[2:3] offset:24 th:TH_ATOMIC_RETURN scope:SCOPE_SYS
	s_wait_loadcnt 0x0
	v_cmp_eq_u64_e32 vcc_lo, v[12:13], v[20:21]
	v_mov_b64_e32 v[20:21], v[12:13]
	s_or_b32 s12, vcc_lo, s12
	s_delay_alu instid0(SALU_CYCLE_1)
	s_and_not1_b32 exec_lo, exec_lo, s12
	s_cbranch_execnz .LBB1_221
	s_branch .LBB1_146
.LBB1_222:
                                        ; implicit-def: $vgpr10_vgpr11
	s_cbranch_execnz .LBB1_224
	s_branch .LBB1_251
.LBB1_223:
	s_branch .LBB1_251
.LBB1_224:
	v_readfirstlane_b32 s0, v52
	v_mov_b64_e32 v[0:1], 0
	s_delay_alu instid0(VALU_DEP_2)
	v_cmp_eq_u32_e64 s0, s0, v52
	s_and_saveexec_b32 s1, s0
	s_cbranch_execz .LBB1_230
; %bb.225:
	v_mov_b32_e32 v3, 0
	s_mov_b32 s4, exec_lo
	global_load_b64 v[12:13], v3, s[2:3] offset:24 scope:SCOPE_SYS
	s_wait_loadcnt 0x0
	global_inv scope:SCOPE_SYS
	s_clause 0x1
	global_load_b64 v[0:1], v3, s[2:3] offset:40
	global_load_b64 v[4:5], v3, s[2:3]
	s_wait_loadcnt 0x1
	v_and_b32_e32 v0, v0, v12
	v_and_b32_e32 v1, v1, v13
	s_delay_alu instid0(VALU_DEP_1) | instskip(SKIP_1) | instid1(VALU_DEP_1)
	v_mul_u64_e32 v[0:1], 24, v[0:1]
	s_wait_loadcnt 0x0
	v_add_nc_u64_e32 v[0:1], v[4:5], v[0:1]
	global_load_b64 v[10:11], v[0:1], off scope:SCOPE_SYS
	s_wait_xcnt 0x0
	s_wait_loadcnt 0x0
	global_atomic_cmpswap_b64 v[0:1], v3, v[10:13], s[2:3] offset:24 th:TH_ATOMIC_RETURN scope:SCOPE_SYS
	s_wait_loadcnt 0x0
	global_inv scope:SCOPE_SYS
	s_wait_xcnt 0x0
	v_cmpx_ne_u64_e64 v[0:1], v[12:13]
	s_cbranch_execz .LBB1_229
; %bb.226:
	s_mov_b32 s5, 0
.LBB1_227:                              ; =>This Inner Loop Header: Depth=1
	s_sleep 1
	s_clause 0x1
	global_load_b64 v[4:5], v3, s[2:3] offset:40
	global_load_b64 v[10:11], v3, s[2:3]
	v_mov_b64_e32 v[12:13], v[0:1]
	s_wait_loadcnt 0x1
	s_delay_alu instid0(VALU_DEP_1) | instskip(NEXT) | instid1(VALU_DEP_2)
	v_and_b32_e32 v0, v4, v12
	v_and_b32_e32 v4, v5, v13
	s_wait_loadcnt 0x0
	s_delay_alu instid0(VALU_DEP_2) | instskip(NEXT) | instid1(VALU_DEP_1)
	v_mad_nc_u64_u32 v[0:1], v0, 24, v[10:11]
	v_mad_u32 v1, v4, 24, v1
	global_load_b64 v[10:11], v[0:1], off scope:SCOPE_SYS
	s_wait_xcnt 0x0
	s_wait_loadcnt 0x0
	global_atomic_cmpswap_b64 v[0:1], v3, v[10:13], s[2:3] offset:24 th:TH_ATOMIC_RETURN scope:SCOPE_SYS
	s_wait_loadcnt 0x0
	global_inv scope:SCOPE_SYS
	v_cmp_eq_u64_e32 vcc_lo, v[0:1], v[12:13]
	s_or_b32 s5, vcc_lo, s5
	s_wait_xcnt 0x0
	s_and_not1_b32 exec_lo, exec_lo, s5
	s_cbranch_execnz .LBB1_227
; %bb.228:
	s_or_b32 exec_lo, exec_lo, s5
.LBB1_229:
	s_delay_alu instid0(SALU_CYCLE_1)
	s_or_b32 exec_lo, exec_lo, s4
.LBB1_230:
	s_delay_alu instid0(SALU_CYCLE_1)
	s_or_b32 exec_lo, exec_lo, s1
	v_readfirstlane_b32 s4, v0
	v_mov_b32_e32 v35, 0
	v_readfirstlane_b32 s5, v1
	s_mov_b32 s1, exec_lo
	s_clause 0x1
	global_load_b64 v[4:5], v35, s[2:3] offset:40
	global_load_b128 v[12:15], v35, s[2:3]
	s_wait_loadcnt 0x1
	v_and_b32_e32 v4, s4, v4
	v_and_b32_e32 v5, s5, v5
	s_delay_alu instid0(VALU_DEP_1) | instskip(SKIP_1) | instid1(VALU_DEP_1)
	v_mul_u64_e32 v[0:1], 24, v[4:5]
	s_wait_loadcnt 0x0
	v_add_nc_u64_e32 v[0:1], v[12:13], v[0:1]
	s_wait_xcnt 0x0
	s_and_saveexec_b32 s6, s0
	s_cbranch_execz .LBB1_232
; %bb.231:
	v_mov_b64_e32 v[18:19], 0x100000002
	v_dual_mov_b32 v16, s1 :: v_dual_mov_b32 v17, v35
	global_store_b128 v[0:1], v[16:19], off offset:8
.LBB1_232:
	s_wait_xcnt 0x0
	s_or_b32 exec_lo, exec_lo, s6
	v_lshlrev_b64_e32 v[4:5], 12, v[4:5]
	s_mov_b32 s12, 0
	v_and_or_b32 v8, 0xffffff1f, v8, 32
	s_mov_b32 s14, s12
	s_mov_b32 s15, s12
	;; [unrolled: 1-line block ×3, first 2 shown]
	v_dual_mov_b32 v10, v35 :: v_dual_mov_b32 v11, v35
	v_add_nc_u64_e32 v[4:5], v[14:15], v[4:5]
	v_mov_b64_e32 v[16:17], s[14:15]
	v_mov_b64_e32 v[14:15], s[12:13]
	s_delay_alu instid0(VALU_DEP_3) | instskip(NEXT) | instid1(VALU_DEP_4)
	v_readfirstlane_b32 s6, v4
	v_readfirstlane_b32 s7, v5
	s_clause 0x3
	global_store_b128 v34, v[8:11], s[6:7]
	global_store_b128 v34, v[14:17], s[6:7] offset:16
	global_store_b128 v34, v[14:17], s[6:7] offset:32
	;; [unrolled: 1-line block ×3, first 2 shown]
	s_wait_xcnt 0x0
	s_and_saveexec_b32 s1, s0
	s_cbranch_execz .LBB1_240
; %bb.233:
	v_dual_mov_b32 v3, 0 :: v_dual_mov_b32 v15, s5
	s_mov_b32 s6, exec_lo
	s_clause 0x1
	global_load_b64 v[16:17], v3, s[2:3] offset:32 scope:SCOPE_SYS
	global_load_b64 v[8:9], v3, s[2:3] offset:40
	s_wait_loadcnt 0x0
	v_dual_mov_b32 v14, s4 :: v_dual_bitop2_b32 v9, s5, v9 bitop3:0x40
	v_and_b32_e32 v8, s4, v8
	s_delay_alu instid0(VALU_DEP_1) | instskip(NEXT) | instid1(VALU_DEP_1)
	v_mul_u64_e32 v[8:9], 24, v[8:9]
	v_add_nc_u64_e32 v[12:13], v[12:13], v[8:9]
	global_store_b64 v[12:13], v[16:17], off
	global_wb scope:SCOPE_SYS
	s_wait_storecnt 0x0
	s_wait_xcnt 0x0
	global_atomic_cmpswap_b64 v[10:11], v3, v[14:17], s[2:3] offset:32 th:TH_ATOMIC_RETURN scope:SCOPE_SYS
	s_wait_loadcnt 0x0
	v_cmpx_ne_u64_e64 v[10:11], v[16:17]
	s_cbranch_execz .LBB1_236
; %bb.234:
	s_mov_b32 s7, 0
.LBB1_235:                              ; =>This Inner Loop Header: Depth=1
	v_dual_mov_b32 v8, s4 :: v_dual_mov_b32 v9, s5
	s_sleep 1
	global_store_b64 v[12:13], v[10:11], off
	global_wb scope:SCOPE_SYS
	s_wait_storecnt 0x0
	s_wait_xcnt 0x0
	global_atomic_cmpswap_b64 v[8:9], v3, v[8:11], s[2:3] offset:32 th:TH_ATOMIC_RETURN scope:SCOPE_SYS
	s_wait_loadcnt 0x0
	v_cmp_eq_u64_e32 vcc_lo, v[8:9], v[10:11]
	v_mov_b64_e32 v[10:11], v[8:9]
	s_or_b32 s7, vcc_lo, s7
	s_delay_alu instid0(SALU_CYCLE_1)
	s_and_not1_b32 exec_lo, exec_lo, s7
	s_cbranch_execnz .LBB1_235
.LBB1_236:
	s_or_b32 exec_lo, exec_lo, s6
	v_mov_b32_e32 v11, 0
	s_mov_b32 s7, exec_lo
	s_mov_b32 s6, exec_lo
	v_mbcnt_lo_u32_b32 v3, s7, 0
	global_load_b64 v[8:9], v11, s[2:3] offset:16
	s_wait_xcnt 0x0
	v_cmpx_eq_u32_e32 0, v3
	s_cbranch_execz .LBB1_238
; %bb.237:
	s_bcnt1_i32_b32 s7, s7
	s_delay_alu instid0(SALU_CYCLE_1)
	v_mov_b32_e32 v10, s7
	global_wb scope:SCOPE_SYS
	s_wait_loadcnt 0x0
	s_wait_storecnt 0x0
	global_atomic_add_u64 v[8:9], v[10:11], off offset:8 scope:SCOPE_SYS
.LBB1_238:
	s_wait_xcnt 0x0
	s_or_b32 exec_lo, exec_lo, s6
	s_wait_loadcnt 0x0
	global_load_b64 v[10:11], v[8:9], off offset:16
	s_wait_loadcnt 0x0
	v_cmp_eq_u64_e32 vcc_lo, 0, v[10:11]
	s_cbranch_vccnz .LBB1_240
; %bb.239:
	global_load_b32 v8, v[8:9], off offset:24
	s_wait_xcnt 0x0
	v_mov_b32_e32 v9, 0
	s_wait_loadcnt 0x0
	v_readfirstlane_b32 s6, v8
	global_wb scope:SCOPE_SYS
	s_wait_storecnt 0x0
	global_store_b64 v[10:11], v[8:9], off scope:SCOPE_SYS
	s_and_b32 m0, s6, 0xffffff
	s_sendmsg sendmsg(MSG_INTERRUPT)
.LBB1_240:
	s_wait_xcnt 0x0
	s_or_b32 exec_lo, exec_lo, s1
	v_add_nc_u64_e32 v[4:5], v[4:5], v[34:35]
	s_branch .LBB1_244
.LBB1_241:                              ;   in Loop: Header=BB1_244 Depth=1
	s_wait_xcnt 0x0
	s_or_b32 exec_lo, exec_lo, s1
	s_delay_alu instid0(VALU_DEP_1)
	v_readfirstlane_b32 s1, v3
	s_cmp_eq_u32 s1, 0
	s_cbranch_scc1 .LBB1_243
; %bb.242:                              ;   in Loop: Header=BB1_244 Depth=1
	s_sleep 1
	s_cbranch_execnz .LBB1_244
	s_branch .LBB1_246
.LBB1_243:
	s_branch .LBB1_246
.LBB1_244:                              ; =>This Inner Loop Header: Depth=1
	v_mov_b32_e32 v3, 1
	s_and_saveexec_b32 s1, s0
	s_cbranch_execz .LBB1_241
; %bb.245:                              ;   in Loop: Header=BB1_244 Depth=1
	global_load_b32 v3, v[0:1], off offset:20 scope:SCOPE_SYS
	s_wait_loadcnt 0x0
	global_inv scope:SCOPE_SYS
	v_and_b32_e32 v3, 1, v3
	s_branch .LBB1_241
.LBB1_246:
	global_load_b64 v[10:11], v[4:5], off
	s_wait_xcnt 0x0
	s_and_saveexec_b32 s6, s0
	s_cbranch_execz .LBB1_250
; %bb.247:
	v_mov_b32_e32 v3, 0
	s_clause 0x2
	global_load_b64 v[0:1], v3, s[2:3] offset:40
	global_load_b64 v[16:17], v3, s[2:3] offset:24 scope:SCOPE_SYS
	global_load_b64 v[4:5], v3, s[2:3]
	s_wait_loadcnt 0x2
	v_readfirstlane_b32 s10, v0
	v_readfirstlane_b32 s11, v1
	s_add_nc_u64 s[0:1], s[10:11], 1
	s_delay_alu instid0(SALU_CYCLE_1) | instskip(NEXT) | instid1(SALU_CYCLE_1)
	s_add_nc_u64 s[4:5], s[0:1], s[4:5]
	s_cmp_eq_u64 s[4:5], 0
	s_cselect_b32 s1, s1, s5
	s_cselect_b32 s0, s0, s4
	v_mov_b32_e32 v15, s1
	s_and_b64 s[4:5], s[0:1], s[10:11]
	v_mov_b32_e32 v14, s0
	s_mul_u64 s[4:5], s[4:5], 24
	s_wait_loadcnt 0x0
	v_add_nc_u64_e32 v[0:1], s[4:5], v[4:5]
	global_store_b64 v[0:1], v[16:17], off
	global_wb scope:SCOPE_SYS
	s_wait_storecnt 0x0
	s_wait_xcnt 0x0
	global_atomic_cmpswap_b64 v[14:15], v3, v[14:17], s[2:3] offset:24 th:TH_ATOMIC_RETURN scope:SCOPE_SYS
	s_wait_loadcnt 0x0
	v_cmp_ne_u64_e32 vcc_lo, v[14:15], v[16:17]
	s_and_b32 exec_lo, exec_lo, vcc_lo
	s_cbranch_execz .LBB1_250
; %bb.248:
	s_mov_b32 s4, 0
.LBB1_249:                              ; =>This Inner Loop Header: Depth=1
	v_dual_mov_b32 v12, s0 :: v_dual_mov_b32 v13, s1
	s_sleep 1
	global_store_b64 v[0:1], v[14:15], off
	global_wb scope:SCOPE_SYS
	s_wait_storecnt 0x0
	s_wait_xcnt 0x0
	global_atomic_cmpswap_b64 v[4:5], v3, v[12:15], s[2:3] offset:24 th:TH_ATOMIC_RETURN scope:SCOPE_SYS
	s_wait_loadcnt 0x0
	v_cmp_eq_u64_e32 vcc_lo, v[4:5], v[14:15]
	v_mov_b64_e32 v[14:15], v[4:5]
	s_or_b32 s4, vcc_lo, s4
	s_delay_alu instid0(SALU_CYCLE_1)
	s_and_not1_b32 exec_lo, exec_lo, s4
	s_cbranch_execnz .LBB1_249
.LBB1_250:
	s_or_b32 exec_lo, exec_lo, s6
.LBB1_251:
	v_readfirstlane_b32 s0, v52
	v_mov_b64_e32 v[0:1], 0
	s_delay_alu instid0(VALU_DEP_2)
	v_cmp_eq_u32_e64 s0, s0, v52
	s_and_saveexec_b32 s1, s0
	s_cbranch_execz .LBB1_257
; %bb.252:
	v_mov_b32_e32 v3, 0
	s_mov_b32 s4, exec_lo
	global_load_b64 v[14:15], v3, s[2:3] offset:24 scope:SCOPE_SYS
	s_wait_loadcnt 0x0
	global_inv scope:SCOPE_SYS
	s_clause 0x1
	global_load_b64 v[0:1], v3, s[2:3] offset:40
	global_load_b64 v[4:5], v3, s[2:3]
	s_wait_loadcnt 0x1
	v_and_b32_e32 v0, v0, v14
	v_and_b32_e32 v1, v1, v15
	s_delay_alu instid0(VALU_DEP_1) | instskip(SKIP_1) | instid1(VALU_DEP_1)
	v_mul_u64_e32 v[0:1], 24, v[0:1]
	s_wait_loadcnt 0x0
	v_add_nc_u64_e32 v[0:1], v[4:5], v[0:1]
	global_load_b64 v[12:13], v[0:1], off scope:SCOPE_SYS
	s_wait_xcnt 0x0
	s_wait_loadcnt 0x0
	global_atomic_cmpswap_b64 v[0:1], v3, v[12:15], s[2:3] offset:24 th:TH_ATOMIC_RETURN scope:SCOPE_SYS
	s_wait_loadcnt 0x0
	global_inv scope:SCOPE_SYS
	s_wait_xcnt 0x0
	v_cmpx_ne_u64_e64 v[0:1], v[14:15]
	s_cbranch_execz .LBB1_256
; %bb.253:
	s_mov_b32 s5, 0
.LBB1_254:                              ; =>This Inner Loop Header: Depth=1
	s_sleep 1
	s_clause 0x1
	global_load_b64 v[4:5], v3, s[2:3] offset:40
	global_load_b64 v[8:9], v3, s[2:3]
	v_mov_b64_e32 v[14:15], v[0:1]
	s_wait_loadcnt 0x1
	s_delay_alu instid0(VALU_DEP_1) | instskip(NEXT) | instid1(VALU_DEP_2)
	v_and_b32_e32 v0, v4, v14
	v_and_b32_e32 v4, v5, v15
	s_wait_loadcnt 0x0
	s_delay_alu instid0(VALU_DEP_2) | instskip(NEXT) | instid1(VALU_DEP_1)
	v_mad_nc_u64_u32 v[0:1], v0, 24, v[8:9]
	v_mad_u32 v1, v4, 24, v1
	global_load_b64 v[12:13], v[0:1], off scope:SCOPE_SYS
	s_wait_xcnt 0x0
	s_wait_loadcnt 0x0
	global_atomic_cmpswap_b64 v[0:1], v3, v[12:15], s[2:3] offset:24 th:TH_ATOMIC_RETURN scope:SCOPE_SYS
	s_wait_loadcnt 0x0
	global_inv scope:SCOPE_SYS
	v_cmp_eq_u64_e32 vcc_lo, v[0:1], v[14:15]
	s_or_b32 s5, vcc_lo, s5
	s_wait_xcnt 0x0
	s_and_not1_b32 exec_lo, exec_lo, s5
	s_cbranch_execnz .LBB1_254
; %bb.255:
	s_or_b32 exec_lo, exec_lo, s5
.LBB1_256:
	s_delay_alu instid0(SALU_CYCLE_1)
	s_or_b32 exec_lo, exec_lo, s4
.LBB1_257:
	s_delay_alu instid0(SALU_CYCLE_1)
	s_or_b32 exec_lo, exec_lo, s1
	v_readfirstlane_b32 s4, v0
	v_mov_b32_e32 v35, 0
	v_readfirstlane_b32 s5, v1
	s_mov_b32 s1, exec_lo
	s_clause 0x1
	global_load_b64 v[4:5], v35, s[2:3] offset:40
	global_load_b128 v[14:17], v35, s[2:3]
	s_wait_loadcnt 0x1
	v_and_b32_e32 v0, s4, v4
	v_and_b32_e32 v1, s5, v5
	s_delay_alu instid0(VALU_DEP_1) | instskip(SKIP_1) | instid1(VALU_DEP_1)
	v_mul_u64_e32 v[4:5], 24, v[0:1]
	s_wait_loadcnt 0x0
	v_add_nc_u64_e32 v[4:5], v[14:15], v[4:5]
	s_wait_xcnt 0x0
	s_and_saveexec_b32 s6, s0
	s_cbranch_execz .LBB1_259
; %bb.258:
	v_mov_b64_e32 v[20:21], 0x100000002
	v_dual_mov_b32 v18, s1 :: v_dual_mov_b32 v19, v35
	global_store_b128 v[4:5], v[18:21], off offset:8
.LBB1_259:
	s_wait_xcnt 0x0
	s_or_b32 exec_lo, exec_lo, s6
	v_lshlrev_b64_e32 v[0:1], 12, v[0:1]
	s_mov_b32 s12, 0
	v_dual_mov_b32 v12, v2 :: v_dual_mov_b32 v13, v35
	s_mov_b32 s13, s12
	s_mov_b32 s14, s12
	;; [unrolled: 1-line block ×3, first 2 shown]
	s_delay_alu instid0(VALU_DEP_2) | instskip(SKIP_3) | instid1(VALU_DEP_4)
	v_add_nc_u64_e32 v[8:9], v[16:17], v[0:1]
	v_mov_b64_e32 v[0:1], s[12:13]
	v_mov_b64_e32 v[2:3], s[14:15]
	v_and_or_b32 v10, 0xffffff1f, v10, 32
	v_readfirstlane_b32 s6, v8
	v_readfirstlane_b32 s7, v9
	s_clause 0x3
	global_store_b128 v34, v[10:13], s[6:7]
	global_store_b128 v34, v[0:3], s[6:7] offset:16
	global_store_b128 v34, v[0:3], s[6:7] offset:32
	;; [unrolled: 1-line block ×3, first 2 shown]
	s_wait_xcnt 0x0
	s_and_saveexec_b32 s1, s0
	s_cbranch_execz .LBB1_267
; %bb.260:
	v_mov_b32_e32 v12, 0
	s_mov_b32 s6, exec_lo
	s_clause 0x1
	global_load_b64 v[16:17], v12, s[2:3] offset:32 scope:SCOPE_SYS
	global_load_b64 v[0:1], v12, s[2:3] offset:40
	s_wait_loadcnt 0x0
	v_and_b32_e32 v0, s4, v0
	v_and_b32_e32 v1, s5, v1
	s_delay_alu instid0(VALU_DEP_1) | instskip(NEXT) | instid1(VALU_DEP_1)
	v_mul_u64_e32 v[0:1], 24, v[0:1]
	v_add_nc_u64_e32 v[10:11], v[14:15], v[0:1]
	v_dual_mov_b32 v14, s4 :: v_dual_mov_b32 v15, s5
	global_store_b64 v[10:11], v[16:17], off
	global_wb scope:SCOPE_SYS
	s_wait_storecnt 0x0
	s_wait_xcnt 0x0
	global_atomic_cmpswap_b64 v[2:3], v12, v[14:17], s[2:3] offset:32 th:TH_ATOMIC_RETURN scope:SCOPE_SYS
	s_wait_loadcnt 0x0
	v_cmpx_ne_u64_e64 v[2:3], v[16:17]
	s_cbranch_execz .LBB1_263
; %bb.261:
	s_mov_b32 s7, 0
.LBB1_262:                              ; =>This Inner Loop Header: Depth=1
	v_dual_mov_b32 v0, s4 :: v_dual_mov_b32 v1, s5
	s_sleep 1
	global_store_b64 v[10:11], v[2:3], off
	global_wb scope:SCOPE_SYS
	s_wait_storecnt 0x0
	s_wait_xcnt 0x0
	global_atomic_cmpswap_b64 v[0:1], v12, v[0:3], s[2:3] offset:32 th:TH_ATOMIC_RETURN scope:SCOPE_SYS
	s_wait_loadcnt 0x0
	v_cmp_eq_u64_e32 vcc_lo, v[0:1], v[2:3]
	v_mov_b64_e32 v[2:3], v[0:1]
	s_or_b32 s7, vcc_lo, s7
	s_delay_alu instid0(SALU_CYCLE_1)
	s_and_not1_b32 exec_lo, exec_lo, s7
	s_cbranch_execnz .LBB1_262
.LBB1_263:
	s_or_b32 exec_lo, exec_lo, s6
	v_mov_b32_e32 v3, 0
	s_mov_b32 s7, exec_lo
	s_mov_b32 s6, exec_lo
	v_mbcnt_lo_u32_b32 v2, s7, 0
	global_load_b64 v[0:1], v3, s[2:3] offset:16
	s_wait_xcnt 0x0
	v_cmpx_eq_u32_e32 0, v2
	s_cbranch_execz .LBB1_265
; %bb.264:
	s_bcnt1_i32_b32 s7, s7
	s_delay_alu instid0(SALU_CYCLE_1)
	v_mov_b32_e32 v2, s7
	global_wb scope:SCOPE_SYS
	s_wait_loadcnt 0x0
	s_wait_storecnt 0x0
	global_atomic_add_u64 v[0:1], v[2:3], off offset:8 scope:SCOPE_SYS
.LBB1_265:
	s_wait_xcnt 0x0
	s_or_b32 exec_lo, exec_lo, s6
	s_wait_loadcnt 0x0
	global_load_b64 v[2:3], v[0:1], off offset:16
	s_wait_loadcnt 0x0
	v_cmp_eq_u64_e32 vcc_lo, 0, v[2:3]
	s_cbranch_vccnz .LBB1_267
; %bb.266:
	global_load_b32 v0, v[0:1], off offset:24
	s_wait_xcnt 0x0
	v_mov_b32_e32 v1, 0
	s_wait_loadcnt 0x0
	v_readfirstlane_b32 s6, v0
	global_wb scope:SCOPE_SYS
	s_wait_storecnt 0x0
	global_store_b64 v[2:3], v[0:1], off scope:SCOPE_SYS
	s_and_b32 m0, s6, 0xffffff
	s_sendmsg sendmsg(MSG_INTERRUPT)
.LBB1_267:
	s_wait_xcnt 0x0
	s_or_b32 exec_lo, exec_lo, s1
	v_add_nc_u64_e32 v[0:1], v[8:9], v[34:35]
	s_branch .LBB1_271
.LBB1_268:                              ;   in Loop: Header=BB1_271 Depth=1
	s_wait_xcnt 0x0
	s_or_b32 exec_lo, exec_lo, s1
	s_delay_alu instid0(VALU_DEP_1)
	v_readfirstlane_b32 s1, v2
	s_cmp_eq_u32 s1, 0
	s_cbranch_scc1 .LBB1_270
; %bb.269:                              ;   in Loop: Header=BB1_271 Depth=1
	s_sleep 1
	s_cbranch_execnz .LBB1_271
	s_branch .LBB1_273
.LBB1_270:
	s_branch .LBB1_273
.LBB1_271:                              ; =>This Inner Loop Header: Depth=1
	v_mov_b32_e32 v2, 1
	s_and_saveexec_b32 s1, s0
	s_cbranch_execz .LBB1_268
; %bb.272:                              ;   in Loop: Header=BB1_271 Depth=1
	global_load_b32 v2, v[4:5], off offset:20 scope:SCOPE_SYS
	s_wait_loadcnt 0x0
	global_inv scope:SCOPE_SYS
	v_and_b32_e32 v2, 1, v2
	s_branch .LBB1_268
.LBB1_273:
	global_load_b64 v[0:1], v[0:1], off
	s_wait_xcnt 0x0
	s_and_saveexec_b32 s6, s0
	s_cbranch_execz .LBB1_277
; %bb.274:
	v_mov_b32_e32 v10, 0
	s_clause 0x2
	global_load_b64 v[2:3], v10, s[2:3] offset:40
	global_load_b64 v[14:15], v10, s[2:3] offset:24 scope:SCOPE_SYS
	global_load_b64 v[4:5], v10, s[2:3]
	s_wait_loadcnt 0x2
	v_readfirstlane_b32 s10, v2
	v_readfirstlane_b32 s11, v3
	s_add_nc_u64 s[0:1], s[10:11], 1
	s_delay_alu instid0(SALU_CYCLE_1) | instskip(NEXT) | instid1(SALU_CYCLE_1)
	s_add_nc_u64 s[4:5], s[0:1], s[4:5]
	s_cmp_eq_u64 s[4:5], 0
	s_cselect_b32 s1, s1, s5
	s_cselect_b32 s0, s0, s4
	v_mov_b32_e32 v13, s1
	s_and_b64 s[4:5], s[0:1], s[10:11]
	v_mov_b32_e32 v12, s0
	s_mul_u64 s[4:5], s[4:5], 24
	s_wait_loadcnt 0x0
	v_add_nc_u64_e32 v[8:9], s[4:5], v[4:5]
	global_store_b64 v[8:9], v[14:15], off
	global_wb scope:SCOPE_SYS
	s_wait_storecnt 0x0
	s_wait_xcnt 0x0
	global_atomic_cmpswap_b64 v[4:5], v10, v[12:15], s[2:3] offset:24 th:TH_ATOMIC_RETURN scope:SCOPE_SYS
	s_wait_loadcnt 0x0
	v_cmp_ne_u64_e32 vcc_lo, v[4:5], v[14:15]
	s_and_b32 exec_lo, exec_lo, vcc_lo
	s_cbranch_execz .LBB1_277
; %bb.275:
	s_mov_b32 s4, 0
.LBB1_276:                              ; =>This Inner Loop Header: Depth=1
	v_dual_mov_b32 v2, s0 :: v_dual_mov_b32 v3, s1
	s_sleep 1
	global_store_b64 v[8:9], v[4:5], off
	global_wb scope:SCOPE_SYS
	s_wait_storecnt 0x0
	s_wait_xcnt 0x0
	global_atomic_cmpswap_b64 v[2:3], v10, v[2:5], s[2:3] offset:24 th:TH_ATOMIC_RETURN scope:SCOPE_SYS
	s_wait_loadcnt 0x0
	v_cmp_eq_u64_e32 vcc_lo, v[2:3], v[4:5]
	v_mov_b64_e32 v[4:5], v[2:3]
	s_or_b32 s4, vcc_lo, s4
	s_delay_alu instid0(SALU_CYCLE_1)
	s_and_not1_b32 exec_lo, exec_lo, s4
	s_cbranch_execnz .LBB1_276
.LBB1_277:
	s_or_b32 exec_lo, exec_lo, s6
	v_mov_b64_e32 v[2:3], v[36:37]
	s_mov_b32 s0, 0
.LBB1_278:                              ; =>This Inner Loop Header: Depth=1
	global_load_u8 v4, v[2:3], off
	s_wait_xcnt 0x0
	v_add_nc_u64_e32 v[2:3], 1, v[2:3]
	s_wait_loadcnt 0x0
	v_cmp_eq_u16_e32 vcc_lo, 0, v4
	s_or_b32 s0, vcc_lo, s0
	s_delay_alu instid0(SALU_CYCLE_1)
	s_and_not1_b32 exec_lo, exec_lo, s0
	s_cbranch_execnz .LBB1_278
; %bb.279:
	s_or_b32 exec_lo, exec_lo, s0
	s_delay_alu instid0(SALU_CYCLE_1)
	s_mov_b32 s0, exec_lo
	v_cmpx_ne_u64_e32 0, v[36:37]
	s_xor_b32 s6, exec_lo, s0
	s_cbranch_execz .LBB1_365
; %bb.280:
	v_dual_mov_b32 v35, 0 :: v_dual_sub_nc_u32 v28, v2, v36
	v_mov_b64_e32 v[10:11], 0x100000002
	v_and_b32_e32 v30, 2, v0
	v_and_b32_e32 v0, -3, v0
	s_delay_alu instid0(VALU_DEP_4)
	v_ashrrev_i32_e32 v29, 31, v28
	s_mov_b32 s10, 0
	s_mov_b32 s7, 0
	s_branch .LBB1_282
.LBB1_281:                              ;   in Loop: Header=BB1_282 Depth=1
	s_or_b32 exec_lo, exec_lo, s11
	v_sub_nc_u64_e32 v[28:29], v[28:29], v[32:33]
	v_add_nc_u64_e32 v[36:37], v[36:37], v[32:33]
	s_delay_alu instid0(VALU_DEP_2) | instskip(SKIP_1) | instid1(SALU_CYCLE_1)
	v_cmp_eq_u64_e32 vcc_lo, 0, v[28:29]
	s_or_b32 s7, vcc_lo, s7
	s_and_not1_b32 exec_lo, exec_lo, s7
	s_cbranch_execz .LBB1_364
.LBB1_282:                              ; =>This Loop Header: Depth=1
                                        ;     Child Loop BB1_285 Depth 2
                                        ;     Child Loop BB1_293 Depth 2
	;; [unrolled: 1-line block ×11, first 2 shown]
	s_delay_alu instid0(VALU_DEP_1) | instskip(NEXT) | instid1(VALU_DEP_3)
	v_min_u64 v[32:33], v[28:29], 56
	v_add_nc_u64_e32 v[8:9], 8, v[36:37]
	s_mov_b32 s0, exec_lo
	v_cmpx_gt_u64_e32 8, v[28:29]
	s_xor_b32 s4, exec_lo, s0
	s_cbranch_execz .LBB1_288
; %bb.283:                              ;   in Loop: Header=BB1_282 Depth=1
	v_mov_b64_e32 v[2:3], 0
	s_mov_b32 s5, exec_lo
	v_cmpx_ne_u64_e32 0, v[28:29]
	s_cbranch_execz .LBB1_287
; %bb.284:                              ;   in Loop: Header=BB1_282 Depth=1
	v_mov_b64_e32 v[2:3], 0
	v_mov_b64_e32 v[8:9], v[36:37]
	v_lshlrev_b32_e32 v4, 3, v32
	s_mov_b64 s[0:1], 0
	s_mov_b32 s11, 0
.LBB1_285:                              ;   Parent Loop BB1_282 Depth=1
                                        ; =>  This Inner Loop Header: Depth=2
	global_load_u8 v5, v[8:9], off
	v_mov_b32_e32 v13, s10
	s_wait_xcnt 0x0
	v_add_nc_u64_e32 v[8:9], 1, v[8:9]
	s_wait_loadcnt 0x0
	v_and_b32_e32 v12, 0xffff, v5
	s_delay_alu instid0(VALU_DEP_1) | instskip(SKIP_1) | instid1(SALU_CYCLE_1)
	v_lshlrev_b64_e32 v[12:13], s0, v[12:13]
	s_add_nc_u64 s[0:1], s[0:1], 8
	v_cmp_eq_u32_e32 vcc_lo, s0, v4
	s_delay_alu instid0(VALU_DEP_2) | instskip(NEXT) | instid1(VALU_DEP_3)
	v_or_b32_e32 v3, v13, v3
	v_or_b32_e32 v2, v12, v2
	s_or_b32 s11, vcc_lo, s11
	s_delay_alu instid0(SALU_CYCLE_1)
	s_and_not1_b32 exec_lo, exec_lo, s11
	s_cbranch_execnz .LBB1_285
; %bb.286:                              ;   in Loop: Header=BB1_282 Depth=1
	s_or_b32 exec_lo, exec_lo, s11
.LBB1_287:                              ;   in Loop: Header=BB1_282 Depth=1
	s_delay_alu instid0(SALU_CYCLE_1)
	s_or_b32 exec_lo, exec_lo, s5
	v_mov_b64_e32 v[8:9], v[36:37]
.LBB1_288:                              ;   in Loop: Header=BB1_282 Depth=1
	s_or_saveexec_b32 s0, s4
	v_mov_b32_e32 v14, 0
	s_xor_b32 exec_lo, exec_lo, s0
	s_cbranch_execz .LBB1_290
; %bb.289:                              ;   in Loop: Header=BB1_282 Depth=1
	global_load_b64 v[2:3], v[36:37], off
	v_add_nc_u32_e32 v14, -8, v32
.LBB1_290:                              ;   in Loop: Header=BB1_282 Depth=1
	s_wait_xcnt 0x0
	s_or_b32 exec_lo, exec_lo, s0
	v_add_nc_u64_e32 v[4:5], 8, v[8:9]
                                        ; implicit-def: $vgpr12_vgpr13
	s_mov_b32 s0, exec_lo
	v_cmpx_gt_u32_e32 8, v14
	s_xor_b32 s11, exec_lo, s0
	s_cbranch_execz .LBB1_296
; %bb.291:                              ;   in Loop: Header=BB1_282 Depth=1
	v_mov_b64_e32 v[12:13], 0
	s_mov_b32 s12, exec_lo
	v_cmpx_ne_u32_e32 0, v14
	s_cbranch_execz .LBB1_295
; %bb.292:                              ;   in Loop: Header=BB1_282 Depth=1
	v_mov_b64_e32 v[12:13], 0
	s_mov_b64 s[0:1], 0
	s_mov_b32 s13, 0
	s_mov_b64 s[4:5], 0
.LBB1_293:                              ;   Parent Loop BB1_282 Depth=1
                                        ; =>  This Inner Loop Header: Depth=2
	s_delay_alu instid0(SALU_CYCLE_1) | instskip(SKIP_1) | instid1(SALU_CYCLE_1)
	v_add_nc_u64_e32 v[4:5], s[4:5], v[8:9]
	s_add_nc_u64 s[4:5], s[4:5], 1
	v_cmp_eq_u32_e32 vcc_lo, s4, v14
	global_load_u8 v4, v[4:5], off
	s_wait_xcnt 0x0
	v_mov_b32_e32 v5, s10
	s_or_b32 s13, vcc_lo, s13
	s_wait_loadcnt 0x0
	v_and_b32_e32 v4, 0xffff, v4
	s_delay_alu instid0(VALU_DEP_1) | instskip(SKIP_1) | instid1(VALU_DEP_1)
	v_lshlrev_b64_e32 v[4:5], s0, v[4:5]
	s_add_nc_u64 s[0:1], s[0:1], 8
	v_or_b32_e32 v13, v5, v13
	s_delay_alu instid0(VALU_DEP_2)
	v_or_b32_e32 v12, v4, v12
	s_and_not1_b32 exec_lo, exec_lo, s13
	s_cbranch_execnz .LBB1_293
; %bb.294:                              ;   in Loop: Header=BB1_282 Depth=1
	s_or_b32 exec_lo, exec_lo, s13
.LBB1_295:                              ;   in Loop: Header=BB1_282 Depth=1
	s_delay_alu instid0(SALU_CYCLE_1)
	s_or_b32 exec_lo, exec_lo, s12
	v_mov_b64_e32 v[4:5], v[8:9]
                                        ; implicit-def: $vgpr14
.LBB1_296:                              ;   in Loop: Header=BB1_282 Depth=1
	s_or_saveexec_b32 s0, s11
	v_mov_b32_e32 v16, 0
	s_xor_b32 exec_lo, exec_lo, s0
	s_cbranch_execz .LBB1_298
; %bb.297:                              ;   in Loop: Header=BB1_282 Depth=1
	global_load_b64 v[12:13], v[8:9], off
	v_add_nc_u32_e32 v16, -8, v14
.LBB1_298:                              ;   in Loop: Header=BB1_282 Depth=1
	s_wait_xcnt 0x0
	s_or_b32 exec_lo, exec_lo, s0
	v_add_nc_u64_e32 v[8:9], 8, v[4:5]
	s_mov_b32 s0, exec_lo
	v_cmpx_gt_u32_e32 8, v16
	s_xor_b32 s11, exec_lo, s0
	s_cbranch_execz .LBB1_304
; %bb.299:                              ;   in Loop: Header=BB1_282 Depth=1
	v_mov_b64_e32 v[14:15], 0
	s_mov_b32 s12, exec_lo
	v_cmpx_ne_u32_e32 0, v16
	s_cbranch_execz .LBB1_303
; %bb.300:                              ;   in Loop: Header=BB1_282 Depth=1
	v_mov_b64_e32 v[14:15], 0
	s_mov_b64 s[0:1], 0
	s_mov_b32 s13, 0
	s_mov_b64 s[4:5], 0
.LBB1_301:                              ;   Parent Loop BB1_282 Depth=1
                                        ; =>  This Inner Loop Header: Depth=2
	s_delay_alu instid0(SALU_CYCLE_1) | instskip(SKIP_1) | instid1(SALU_CYCLE_1)
	v_add_nc_u64_e32 v[8:9], s[4:5], v[4:5]
	s_add_nc_u64 s[4:5], s[4:5], 1
	v_cmp_eq_u32_e32 vcc_lo, s4, v16
	global_load_u8 v8, v[8:9], off
	s_wait_xcnt 0x0
	v_mov_b32_e32 v9, s10
	s_or_b32 s13, vcc_lo, s13
	s_wait_loadcnt 0x0
	v_and_b32_e32 v8, 0xffff, v8
	s_delay_alu instid0(VALU_DEP_1) | instskip(SKIP_1) | instid1(VALU_DEP_1)
	v_lshlrev_b64_e32 v[8:9], s0, v[8:9]
	s_add_nc_u64 s[0:1], s[0:1], 8
	v_or_b32_e32 v15, v9, v15
	s_delay_alu instid0(VALU_DEP_2)
	v_or_b32_e32 v14, v8, v14
	s_and_not1_b32 exec_lo, exec_lo, s13
	s_cbranch_execnz .LBB1_301
; %bb.302:                              ;   in Loop: Header=BB1_282 Depth=1
	s_or_b32 exec_lo, exec_lo, s13
.LBB1_303:                              ;   in Loop: Header=BB1_282 Depth=1
	s_delay_alu instid0(SALU_CYCLE_1)
	s_or_b32 exec_lo, exec_lo, s12
	v_mov_b64_e32 v[8:9], v[4:5]
                                        ; implicit-def: $vgpr16
.LBB1_304:                              ;   in Loop: Header=BB1_282 Depth=1
	s_or_saveexec_b32 s0, s11
	v_mov_b32_e32 v18, 0
	s_xor_b32 exec_lo, exec_lo, s0
	s_cbranch_execz .LBB1_306
; %bb.305:                              ;   in Loop: Header=BB1_282 Depth=1
	global_load_b64 v[14:15], v[4:5], off
	v_add_nc_u32_e32 v18, -8, v16
.LBB1_306:                              ;   in Loop: Header=BB1_282 Depth=1
	s_wait_xcnt 0x0
	s_or_b32 exec_lo, exec_lo, s0
	v_add_nc_u64_e32 v[4:5], 8, v[8:9]
                                        ; implicit-def: $vgpr16_vgpr17
	s_mov_b32 s0, exec_lo
	v_cmpx_gt_u32_e32 8, v18
	s_xor_b32 s11, exec_lo, s0
	s_cbranch_execz .LBB1_312
; %bb.307:                              ;   in Loop: Header=BB1_282 Depth=1
	v_mov_b64_e32 v[16:17], 0
	s_mov_b32 s12, exec_lo
	v_cmpx_ne_u32_e32 0, v18
	s_cbranch_execz .LBB1_311
; %bb.308:                              ;   in Loop: Header=BB1_282 Depth=1
	v_mov_b64_e32 v[16:17], 0
	s_mov_b64 s[0:1], 0
	s_mov_b32 s13, 0
	s_mov_b64 s[4:5], 0
.LBB1_309:                              ;   Parent Loop BB1_282 Depth=1
                                        ; =>  This Inner Loop Header: Depth=2
	s_delay_alu instid0(SALU_CYCLE_1) | instskip(SKIP_1) | instid1(SALU_CYCLE_1)
	v_add_nc_u64_e32 v[4:5], s[4:5], v[8:9]
	s_add_nc_u64 s[4:5], s[4:5], 1
	v_cmp_eq_u32_e32 vcc_lo, s4, v18
	global_load_u8 v4, v[4:5], off
	s_wait_xcnt 0x0
	v_mov_b32_e32 v5, s10
	s_or_b32 s13, vcc_lo, s13
	s_wait_loadcnt 0x0
	v_and_b32_e32 v4, 0xffff, v4
	s_delay_alu instid0(VALU_DEP_1) | instskip(SKIP_1) | instid1(VALU_DEP_1)
	v_lshlrev_b64_e32 v[4:5], s0, v[4:5]
	s_add_nc_u64 s[0:1], s[0:1], 8
	v_or_b32_e32 v17, v5, v17
	s_delay_alu instid0(VALU_DEP_2)
	v_or_b32_e32 v16, v4, v16
	s_and_not1_b32 exec_lo, exec_lo, s13
	s_cbranch_execnz .LBB1_309
; %bb.310:                              ;   in Loop: Header=BB1_282 Depth=1
	s_or_b32 exec_lo, exec_lo, s13
.LBB1_311:                              ;   in Loop: Header=BB1_282 Depth=1
	s_delay_alu instid0(SALU_CYCLE_1)
	s_or_b32 exec_lo, exec_lo, s12
	v_mov_b64_e32 v[4:5], v[8:9]
                                        ; implicit-def: $vgpr18
.LBB1_312:                              ;   in Loop: Header=BB1_282 Depth=1
	s_or_saveexec_b32 s0, s11
	v_mov_b32_e32 v20, 0
	s_xor_b32 exec_lo, exec_lo, s0
	s_cbranch_execz .LBB1_314
; %bb.313:                              ;   in Loop: Header=BB1_282 Depth=1
	global_load_b64 v[16:17], v[8:9], off
	v_add_nc_u32_e32 v20, -8, v18
.LBB1_314:                              ;   in Loop: Header=BB1_282 Depth=1
	s_wait_xcnt 0x0
	s_or_b32 exec_lo, exec_lo, s0
	v_add_nc_u64_e32 v[8:9], 8, v[4:5]
	s_mov_b32 s0, exec_lo
	v_cmpx_gt_u32_e32 8, v20
	s_xor_b32 s11, exec_lo, s0
	s_cbranch_execz .LBB1_320
; %bb.315:                              ;   in Loop: Header=BB1_282 Depth=1
	v_mov_b64_e32 v[18:19], 0
	s_mov_b32 s12, exec_lo
	v_cmpx_ne_u32_e32 0, v20
	s_cbranch_execz .LBB1_319
; %bb.316:                              ;   in Loop: Header=BB1_282 Depth=1
	v_mov_b64_e32 v[18:19], 0
	s_mov_b64 s[0:1], 0
	s_mov_b32 s13, 0
	s_mov_b64 s[4:5], 0
.LBB1_317:                              ;   Parent Loop BB1_282 Depth=1
                                        ; =>  This Inner Loop Header: Depth=2
	s_delay_alu instid0(SALU_CYCLE_1) | instskip(SKIP_1) | instid1(SALU_CYCLE_1)
	v_add_nc_u64_e32 v[8:9], s[4:5], v[4:5]
	s_add_nc_u64 s[4:5], s[4:5], 1
	v_cmp_eq_u32_e32 vcc_lo, s4, v20
	global_load_u8 v8, v[8:9], off
	s_wait_xcnt 0x0
	v_mov_b32_e32 v9, s10
	s_or_b32 s13, vcc_lo, s13
	s_wait_loadcnt 0x0
	v_and_b32_e32 v8, 0xffff, v8
	s_delay_alu instid0(VALU_DEP_1) | instskip(SKIP_1) | instid1(VALU_DEP_1)
	v_lshlrev_b64_e32 v[8:9], s0, v[8:9]
	s_add_nc_u64 s[0:1], s[0:1], 8
	v_or_b32_e32 v19, v9, v19
	s_delay_alu instid0(VALU_DEP_2)
	v_or_b32_e32 v18, v8, v18
	s_and_not1_b32 exec_lo, exec_lo, s13
	s_cbranch_execnz .LBB1_317
; %bb.318:                              ;   in Loop: Header=BB1_282 Depth=1
	s_or_b32 exec_lo, exec_lo, s13
.LBB1_319:                              ;   in Loop: Header=BB1_282 Depth=1
	s_delay_alu instid0(SALU_CYCLE_1)
	s_or_b32 exec_lo, exec_lo, s12
	v_mov_b64_e32 v[8:9], v[4:5]
                                        ; implicit-def: $vgpr20
.LBB1_320:                              ;   in Loop: Header=BB1_282 Depth=1
	s_or_saveexec_b32 s0, s11
	v_mov_b32_e32 v22, 0
	s_xor_b32 exec_lo, exec_lo, s0
	s_cbranch_execz .LBB1_322
; %bb.321:                              ;   in Loop: Header=BB1_282 Depth=1
	global_load_b64 v[18:19], v[4:5], off
	v_add_nc_u32_e32 v22, -8, v20
.LBB1_322:                              ;   in Loop: Header=BB1_282 Depth=1
	s_wait_xcnt 0x0
	s_or_b32 exec_lo, exec_lo, s0
	v_add_nc_u64_e32 v[4:5], 8, v[8:9]
                                        ; implicit-def: $vgpr20_vgpr21
	s_mov_b32 s0, exec_lo
	v_cmpx_gt_u32_e32 8, v22
	s_xor_b32 s11, exec_lo, s0
	s_cbranch_execz .LBB1_328
; %bb.323:                              ;   in Loop: Header=BB1_282 Depth=1
	v_mov_b64_e32 v[20:21], 0
	s_mov_b32 s12, exec_lo
	v_cmpx_ne_u32_e32 0, v22
	s_cbranch_execz .LBB1_327
; %bb.324:                              ;   in Loop: Header=BB1_282 Depth=1
	v_mov_b64_e32 v[20:21], 0
	s_mov_b64 s[0:1], 0
	s_mov_b32 s13, 0
	s_mov_b64 s[4:5], 0
.LBB1_325:                              ;   Parent Loop BB1_282 Depth=1
                                        ; =>  This Inner Loop Header: Depth=2
	s_delay_alu instid0(SALU_CYCLE_1) | instskip(SKIP_1) | instid1(SALU_CYCLE_1)
	v_add_nc_u64_e32 v[4:5], s[4:5], v[8:9]
	s_add_nc_u64 s[4:5], s[4:5], 1
	v_cmp_eq_u32_e32 vcc_lo, s4, v22
	global_load_u8 v4, v[4:5], off
	s_wait_xcnt 0x0
	v_mov_b32_e32 v5, s10
	s_or_b32 s13, vcc_lo, s13
	s_wait_loadcnt 0x0
	v_and_b32_e32 v4, 0xffff, v4
	s_delay_alu instid0(VALU_DEP_1) | instskip(SKIP_1) | instid1(VALU_DEP_1)
	v_lshlrev_b64_e32 v[4:5], s0, v[4:5]
	s_add_nc_u64 s[0:1], s[0:1], 8
	v_or_b32_e32 v21, v5, v21
	s_delay_alu instid0(VALU_DEP_2)
	v_or_b32_e32 v20, v4, v20
	s_and_not1_b32 exec_lo, exec_lo, s13
	s_cbranch_execnz .LBB1_325
; %bb.326:                              ;   in Loop: Header=BB1_282 Depth=1
	s_or_b32 exec_lo, exec_lo, s13
.LBB1_327:                              ;   in Loop: Header=BB1_282 Depth=1
	s_delay_alu instid0(SALU_CYCLE_1)
	s_or_b32 exec_lo, exec_lo, s12
	v_mov_b64_e32 v[4:5], v[8:9]
                                        ; implicit-def: $vgpr22
.LBB1_328:                              ;   in Loop: Header=BB1_282 Depth=1
	s_or_saveexec_b32 s0, s11
	v_mov_b32_e32 v24, 0
	s_xor_b32 exec_lo, exec_lo, s0
	s_cbranch_execz .LBB1_330
; %bb.329:                              ;   in Loop: Header=BB1_282 Depth=1
	global_load_b64 v[20:21], v[8:9], off
	v_add_nc_u32_e32 v24, -8, v22
.LBB1_330:                              ;   in Loop: Header=BB1_282 Depth=1
	s_wait_xcnt 0x0
	s_or_b32 exec_lo, exec_lo, s0
	s_delay_alu instid0(SALU_CYCLE_1) | instskip(NEXT) | instid1(VALU_DEP_1)
	s_mov_b32 s0, exec_lo
	v_cmpx_gt_u32_e32 8, v24
	s_xor_b32 s4, exec_lo, s0
	s_cbranch_execz .LBB1_336
; %bb.331:                              ;   in Loop: Header=BB1_282 Depth=1
	v_mov_b64_e32 v[22:23], 0
	s_mov_b32 s5, exec_lo
	v_cmpx_ne_u32_e32 0, v24
	s_cbranch_execz .LBB1_335
; %bb.332:                              ;   in Loop: Header=BB1_282 Depth=1
	v_mov_b64_e32 v[22:23], 0
	s_mov_b64 s[0:1], 0
	s_mov_b32 s11, 0
.LBB1_333:                              ;   Parent Loop BB1_282 Depth=1
                                        ; =>  This Inner Loop Header: Depth=2
	global_load_u8 v8, v[4:5], off
	v_dual_mov_b32 v9, s10 :: v_dual_add_nc_u32 v24, -1, v24
	s_wait_xcnt 0x0
	v_add_nc_u64_e32 v[4:5], 1, v[4:5]
	s_delay_alu instid0(VALU_DEP_2) | instskip(SKIP_3) | instid1(VALU_DEP_1)
	v_cmp_eq_u32_e32 vcc_lo, 0, v24
	s_or_b32 s11, vcc_lo, s11
	s_wait_loadcnt 0x0
	v_and_b32_e32 v8, 0xffff, v8
	v_lshlrev_b64_e32 v[8:9], s0, v[8:9]
	s_add_nc_u64 s[0:1], s[0:1], 8
	s_delay_alu instid0(VALU_DEP_1) | instskip(NEXT) | instid1(VALU_DEP_2)
	v_or_b32_e32 v23, v9, v23
	v_or_b32_e32 v22, v8, v22
	s_and_not1_b32 exec_lo, exec_lo, s11
	s_cbranch_execnz .LBB1_333
; %bb.334:                              ;   in Loop: Header=BB1_282 Depth=1
	s_or_b32 exec_lo, exec_lo, s11
.LBB1_335:                              ;   in Loop: Header=BB1_282 Depth=1
	s_delay_alu instid0(SALU_CYCLE_1)
	s_or_b32 exec_lo, exec_lo, s5
                                        ; implicit-def: $vgpr4_vgpr5
.LBB1_336:                              ;   in Loop: Header=BB1_282 Depth=1
	s_and_not1_saveexec_b32 s0, s4
	s_cbranch_execz .LBB1_338
; %bb.337:                              ;   in Loop: Header=BB1_282 Depth=1
	global_load_b64 v[22:23], v[4:5], off
.LBB1_338:                              ;   in Loop: Header=BB1_282 Depth=1
	s_wait_xcnt 0x0
	s_or_b32 exec_lo, exec_lo, s0
	v_readfirstlane_b32 s0, v52
	v_mov_b64_e32 v[4:5], 0
	s_delay_alu instid0(VALU_DEP_2)
	v_cmp_eq_u32_e64 s0, s0, v52
	s_and_saveexec_b32 s1, s0
	s_cbranch_execz .LBB1_344
; %bb.339:                              ;   in Loop: Header=BB1_282 Depth=1
	global_load_b64 v[26:27], v35, s[2:3] offset:24 scope:SCOPE_SYS
	s_wait_loadcnt 0x0
	global_inv scope:SCOPE_SYS
	s_clause 0x1
	global_load_b64 v[4:5], v35, s[2:3] offset:40
	global_load_b64 v[8:9], v35, s[2:3]
	s_mov_b32 s4, exec_lo
	s_wait_loadcnt 0x1
	v_and_b32_e32 v4, v4, v26
	v_and_b32_e32 v5, v5, v27
	s_delay_alu instid0(VALU_DEP_1) | instskip(SKIP_1) | instid1(VALU_DEP_1)
	v_mul_u64_e32 v[4:5], 24, v[4:5]
	s_wait_loadcnt 0x0
	v_add_nc_u64_e32 v[4:5], v[8:9], v[4:5]
	global_load_b64 v[24:25], v[4:5], off scope:SCOPE_SYS
	s_wait_xcnt 0x0
	s_wait_loadcnt 0x0
	global_atomic_cmpswap_b64 v[4:5], v35, v[24:27], s[2:3] offset:24 th:TH_ATOMIC_RETURN scope:SCOPE_SYS
	s_wait_loadcnt 0x0
	global_inv scope:SCOPE_SYS
	s_wait_xcnt 0x0
	v_cmpx_ne_u64_e64 v[4:5], v[26:27]
	s_cbranch_execz .LBB1_343
; %bb.340:                              ;   in Loop: Header=BB1_282 Depth=1
	s_mov_b32 s5, 0
.LBB1_341:                              ;   Parent Loop BB1_282 Depth=1
                                        ; =>  This Inner Loop Header: Depth=2
	s_sleep 1
	s_clause 0x1
	global_load_b64 v[8:9], v35, s[2:3] offset:40
	global_load_b64 v[24:25], v35, s[2:3]
	v_mov_b64_e32 v[26:27], v[4:5]
	s_wait_loadcnt 0x1
	s_delay_alu instid0(VALU_DEP_1) | instskip(NEXT) | instid1(VALU_DEP_2)
	v_and_b32_e32 v4, v8, v26
	v_and_b32_e32 v8, v9, v27
	s_wait_loadcnt 0x0
	s_delay_alu instid0(VALU_DEP_2) | instskip(NEXT) | instid1(VALU_DEP_1)
	v_mad_nc_u64_u32 v[4:5], v4, 24, v[24:25]
	v_mad_u32 v5, v8, 24, v5
	global_load_b64 v[24:25], v[4:5], off scope:SCOPE_SYS
	s_wait_xcnt 0x0
	s_wait_loadcnt 0x0
	global_atomic_cmpswap_b64 v[4:5], v35, v[24:27], s[2:3] offset:24 th:TH_ATOMIC_RETURN scope:SCOPE_SYS
	s_wait_loadcnt 0x0
	global_inv scope:SCOPE_SYS
	v_cmp_eq_u64_e32 vcc_lo, v[4:5], v[26:27]
	s_or_b32 s5, vcc_lo, s5
	s_wait_xcnt 0x0
	s_and_not1_b32 exec_lo, exec_lo, s5
	s_cbranch_execnz .LBB1_341
; %bb.342:                              ;   in Loop: Header=BB1_282 Depth=1
	s_or_b32 exec_lo, exec_lo, s5
.LBB1_343:                              ;   in Loop: Header=BB1_282 Depth=1
	s_delay_alu instid0(SALU_CYCLE_1)
	s_or_b32 exec_lo, exec_lo, s4
.LBB1_344:                              ;   in Loop: Header=BB1_282 Depth=1
	s_delay_alu instid0(SALU_CYCLE_1)
	s_or_b32 exec_lo, exec_lo, s1
	s_clause 0x1
	global_load_b64 v[8:9], v35, s[2:3] offset:40
	global_load_b128 v[24:27], v35, s[2:3]
	v_readfirstlane_b32 s4, v4
	v_readfirstlane_b32 s5, v5
	s_mov_b32 s1, exec_lo
	s_wait_loadcnt 0x1
	v_and_b32_e32 v38, s4, v8
	v_and_b32_e32 v39, s5, v9
	s_delay_alu instid0(VALU_DEP_1) | instskip(SKIP_1) | instid1(VALU_DEP_1)
	v_mul_u64_e32 v[4:5], 24, v[38:39]
	s_wait_loadcnt 0x0
	v_add_nc_u64_e32 v[4:5], v[24:25], v[4:5]
	s_wait_xcnt 0x0
	s_and_saveexec_b32 s11, s0
	s_cbranch_execz .LBB1_346
; %bb.345:                              ;   in Loop: Header=BB1_282 Depth=1
	v_dual_mov_b32 v8, s1 :: v_dual_mov_b32 v9, v35
	global_store_b128 v[4:5], v[8:11], off offset:8
.LBB1_346:                              ;   in Loop: Header=BB1_282 Depth=1
	s_wait_xcnt 0x0
	s_or_b32 exec_lo, exec_lo, s11
	v_cmp_gt_u64_e32 vcc_lo, 57, v[28:29]
	v_lshlrev_b64_e32 v[8:9], 12, v[38:39]
	v_and_b32_e32 v0, 0xffffff1f, v0
	v_lshl_add_u32 v38, v32, 2, 28
	v_cndmask_b32_e32 v31, 0, v30, vcc_lo
	s_delay_alu instid0(VALU_DEP_4) | instskip(NEXT) | instid1(VALU_DEP_2)
	v_add_nc_u64_e32 v[8:9], v[26:27], v[8:9]
	v_or_b32_e32 v0, v0, v31
	s_delay_alu instid0(VALU_DEP_2) | instskip(NEXT) | instid1(VALU_DEP_3)
	v_readfirstlane_b32 s12, v8
	v_readfirstlane_b32 s13, v9
	s_delay_alu instid0(VALU_DEP_3)
	v_and_or_b32 v0, 0x1e0, v38, v0
	s_clause 0x3
	global_store_b128 v34, v[0:3], s[12:13]
	global_store_b128 v34, v[12:15], s[12:13] offset:16
	global_store_b128 v34, v[16:19], s[12:13] offset:32
	;; [unrolled: 1-line block ×3, first 2 shown]
	s_wait_xcnt 0x0
	s_and_saveexec_b32 s1, s0
	s_cbranch_execz .LBB1_354
; %bb.347:                              ;   in Loop: Header=BB1_282 Depth=1
	s_clause 0x1
	global_load_b64 v[16:17], v35, s[2:3] offset:32 scope:SCOPE_SYS
	global_load_b64 v[0:1], v35, s[2:3] offset:40
	s_mov_b32 s11, exec_lo
	v_dual_mov_b32 v14, s4 :: v_dual_mov_b32 v15, s5
	s_wait_loadcnt 0x0
	v_and_b32_e32 v1, s5, v1
	v_and_b32_e32 v0, s4, v0
	s_delay_alu instid0(VALU_DEP_1) | instskip(NEXT) | instid1(VALU_DEP_1)
	v_mul_u64_e32 v[0:1], 24, v[0:1]
	v_add_nc_u64_e32 v[12:13], v[24:25], v[0:1]
	global_store_b64 v[12:13], v[16:17], off
	global_wb scope:SCOPE_SYS
	s_wait_storecnt 0x0
	s_wait_xcnt 0x0
	global_atomic_cmpswap_b64 v[2:3], v35, v[14:17], s[2:3] offset:32 th:TH_ATOMIC_RETURN scope:SCOPE_SYS
	s_wait_loadcnt 0x0
	v_cmpx_ne_u64_e64 v[2:3], v[16:17]
	s_cbranch_execz .LBB1_350
; %bb.348:                              ;   in Loop: Header=BB1_282 Depth=1
	s_mov_b32 s12, 0
.LBB1_349:                              ;   Parent Loop BB1_282 Depth=1
                                        ; =>  This Inner Loop Header: Depth=2
	v_dual_mov_b32 v0, s4 :: v_dual_mov_b32 v1, s5
	s_sleep 1
	global_store_b64 v[12:13], v[2:3], off
	global_wb scope:SCOPE_SYS
	s_wait_storecnt 0x0
	s_wait_xcnt 0x0
	global_atomic_cmpswap_b64 v[0:1], v35, v[0:3], s[2:3] offset:32 th:TH_ATOMIC_RETURN scope:SCOPE_SYS
	s_wait_loadcnt 0x0
	v_cmp_eq_u64_e32 vcc_lo, v[0:1], v[2:3]
	v_mov_b64_e32 v[2:3], v[0:1]
	s_or_b32 s12, vcc_lo, s12
	s_delay_alu instid0(SALU_CYCLE_1)
	s_and_not1_b32 exec_lo, exec_lo, s12
	s_cbranch_execnz .LBB1_349
.LBB1_350:                              ;   in Loop: Header=BB1_282 Depth=1
	s_or_b32 exec_lo, exec_lo, s11
	global_load_b64 v[0:1], v35, s[2:3] offset:16
	s_mov_b32 s12, exec_lo
	s_mov_b32 s11, exec_lo
	v_mbcnt_lo_u32_b32 v2, s12, 0
	s_wait_xcnt 0x0
	s_delay_alu instid0(VALU_DEP_1)
	v_cmpx_eq_u32_e32 0, v2
	s_cbranch_execz .LBB1_352
; %bb.351:                              ;   in Loop: Header=BB1_282 Depth=1
	s_bcnt1_i32_b32 s12, s12
	s_delay_alu instid0(SALU_CYCLE_1)
	v_dual_mov_b32 v3, v35 :: v_dual_mov_b32 v2, s12
	global_wb scope:SCOPE_SYS
	s_wait_loadcnt 0x0
	s_wait_storecnt 0x0
	global_atomic_add_u64 v[0:1], v[2:3], off offset:8 scope:SCOPE_SYS
.LBB1_352:                              ;   in Loop: Header=BB1_282 Depth=1
	s_wait_xcnt 0x0
	s_or_b32 exec_lo, exec_lo, s11
	s_wait_loadcnt 0x0
	global_load_b64 v[2:3], v[0:1], off offset:16
	s_wait_loadcnt 0x0
	v_cmp_eq_u64_e32 vcc_lo, 0, v[2:3]
	s_cbranch_vccnz .LBB1_354
; %bb.353:                              ;   in Loop: Header=BB1_282 Depth=1
	global_load_b32 v0, v[0:1], off offset:24
	s_wait_xcnt 0x0
	v_mov_b32_e32 v1, v35
	s_wait_loadcnt 0x0
	v_readfirstlane_b32 s11, v0
	global_wb scope:SCOPE_SYS
	s_wait_storecnt 0x0
	global_store_b64 v[2:3], v[0:1], off scope:SCOPE_SYS
	s_and_b32 m0, s11, 0xffffff
	s_sendmsg sendmsg(MSG_INTERRUPT)
.LBB1_354:                              ;   in Loop: Header=BB1_282 Depth=1
	s_wait_xcnt 0x0
	s_or_b32 exec_lo, exec_lo, s1
	v_add_nc_u64_e32 v[0:1], v[8:9], v[34:35]
	s_branch .LBB1_358
.LBB1_355:                              ;   in Loop: Header=BB1_358 Depth=2
	s_wait_xcnt 0x0
	s_or_b32 exec_lo, exec_lo, s1
	s_delay_alu instid0(VALU_DEP_1)
	v_readfirstlane_b32 s1, v2
	s_cmp_eq_u32 s1, 0
	s_cbranch_scc1 .LBB1_357
; %bb.356:                              ;   in Loop: Header=BB1_358 Depth=2
	s_sleep 1
	s_cbranch_execnz .LBB1_358
	s_branch .LBB1_360
.LBB1_357:                              ;   in Loop: Header=BB1_282 Depth=1
	s_branch .LBB1_360
.LBB1_358:                              ;   Parent Loop BB1_282 Depth=1
                                        ; =>  This Inner Loop Header: Depth=2
	v_mov_b32_e32 v2, 1
	s_and_saveexec_b32 s1, s0
	s_cbranch_execz .LBB1_355
; %bb.359:                              ;   in Loop: Header=BB1_358 Depth=2
	global_load_b32 v2, v[4:5], off offset:20 scope:SCOPE_SYS
	s_wait_loadcnt 0x0
	global_inv scope:SCOPE_SYS
	v_and_b32_e32 v2, 1, v2
	s_branch .LBB1_355
.LBB1_360:                              ;   in Loop: Header=BB1_282 Depth=1
	global_load_b64 v[0:1], v[0:1], off
	s_wait_xcnt 0x0
	s_and_saveexec_b32 s11, s0
	s_cbranch_execz .LBB1_281
; %bb.361:                              ;   in Loop: Header=BB1_282 Depth=1
	s_clause 0x2
	global_load_b64 v[2:3], v35, s[2:3] offset:40
	global_load_b64 v[14:15], v35, s[2:3] offset:24 scope:SCOPE_SYS
	global_load_b64 v[4:5], v35, s[2:3]
	s_wait_loadcnt 0x2
	v_readfirstlane_b32 s12, v2
	v_readfirstlane_b32 s13, v3
	s_add_nc_u64 s[0:1], s[12:13], 1
	s_delay_alu instid0(SALU_CYCLE_1) | instskip(NEXT) | instid1(SALU_CYCLE_1)
	s_add_nc_u64 s[4:5], s[0:1], s[4:5]
	s_cmp_eq_u64 s[4:5], 0
	s_cselect_b32 s1, s1, s5
	s_cselect_b32 s0, s0, s4
	s_delay_alu instid0(SALU_CYCLE_1) | instskip(SKIP_1) | instid1(SALU_CYCLE_1)
	v_dual_mov_b32 v13, s1 :: v_dual_mov_b32 v12, s0
	s_and_b64 s[4:5], s[0:1], s[12:13]
	s_mul_u64 s[4:5], s[4:5], 24
	s_wait_loadcnt 0x0
	v_add_nc_u64_e32 v[8:9], s[4:5], v[4:5]
	global_store_b64 v[8:9], v[14:15], off
	global_wb scope:SCOPE_SYS
	s_wait_storecnt 0x0
	s_wait_xcnt 0x0
	global_atomic_cmpswap_b64 v[4:5], v35, v[12:15], s[2:3] offset:24 th:TH_ATOMIC_RETURN scope:SCOPE_SYS
	s_wait_loadcnt 0x0
	v_cmp_ne_u64_e32 vcc_lo, v[4:5], v[14:15]
	s_and_b32 exec_lo, exec_lo, vcc_lo
	s_cbranch_execz .LBB1_281
; %bb.362:                              ;   in Loop: Header=BB1_282 Depth=1
	s_mov_b32 s4, 0
.LBB1_363:                              ;   Parent Loop BB1_282 Depth=1
                                        ; =>  This Inner Loop Header: Depth=2
	v_dual_mov_b32 v2, s0 :: v_dual_mov_b32 v3, s1
	s_sleep 1
	global_store_b64 v[8:9], v[4:5], off
	global_wb scope:SCOPE_SYS
	s_wait_storecnt 0x0
	s_wait_xcnt 0x0
	global_atomic_cmpswap_b64 v[2:3], v35, v[2:5], s[2:3] offset:24 th:TH_ATOMIC_RETURN scope:SCOPE_SYS
	s_wait_loadcnt 0x0
	v_cmp_eq_u64_e32 vcc_lo, v[2:3], v[4:5]
	v_mov_b64_e32 v[4:5], v[2:3]
	s_or_b32 s4, vcc_lo, s4
	s_delay_alu instid0(SALU_CYCLE_1)
	s_and_not1_b32 exec_lo, exec_lo, s4
	s_cbranch_execnz .LBB1_363
	s_branch .LBB1_281
.LBB1_364:
	s_or_b32 exec_lo, exec_lo, s7
                                        ; implicit-def: $vgpr34
                                        ; implicit-def: $vgpr52
.LBB1_365:
	s_and_not1_saveexec_b32 s6, s6
	s_cbranch_execz .LBB1_393
; %bb.366:
	v_readfirstlane_b32 s0, v52
	v_mov_b64_e32 v[2:3], 0
	s_delay_alu instid0(VALU_DEP_2)
	v_cmp_eq_u32_e64 s0, s0, v52
	s_and_saveexec_b32 s1, s0
	s_cbranch_execz .LBB1_372
; %bb.367:
	v_mov_b32_e32 v4, 0
	s_mov_b32 s4, exec_lo
	global_load_b64 v[10:11], v4, s[2:3] offset:24 scope:SCOPE_SYS
	s_wait_loadcnt 0x0
	global_inv scope:SCOPE_SYS
	s_clause 0x1
	global_load_b64 v[2:3], v4, s[2:3] offset:40
	global_load_b64 v[8:9], v4, s[2:3]
	s_wait_loadcnt 0x1
	v_and_b32_e32 v2, v2, v10
	v_and_b32_e32 v3, v3, v11
	s_delay_alu instid0(VALU_DEP_1) | instskip(SKIP_1) | instid1(VALU_DEP_1)
	v_mul_u64_e32 v[2:3], 24, v[2:3]
	s_wait_loadcnt 0x0
	v_add_nc_u64_e32 v[2:3], v[8:9], v[2:3]
	global_load_b64 v[8:9], v[2:3], off scope:SCOPE_SYS
	s_wait_xcnt 0x0
	s_wait_loadcnt 0x0
	global_atomic_cmpswap_b64 v[2:3], v4, v[8:11], s[2:3] offset:24 th:TH_ATOMIC_RETURN scope:SCOPE_SYS
	s_wait_loadcnt 0x0
	global_inv scope:SCOPE_SYS
	s_wait_xcnt 0x0
	v_cmpx_ne_u64_e64 v[2:3], v[10:11]
	s_cbranch_execz .LBB1_371
; %bb.368:
	s_mov_b32 s5, 0
.LBB1_369:                              ; =>This Inner Loop Header: Depth=1
	s_sleep 1
	s_clause 0x1
	global_load_b64 v[8:9], v4, s[2:3] offset:40
	global_load_b64 v[12:13], v4, s[2:3]
	v_mov_b64_e32 v[10:11], v[2:3]
	s_wait_loadcnt 0x1
	s_delay_alu instid0(VALU_DEP_1) | instskip(NEXT) | instid1(VALU_DEP_2)
	v_and_b32_e32 v2, v8, v10
	v_and_b32_e32 v5, v9, v11
	s_wait_loadcnt 0x0
	s_delay_alu instid0(VALU_DEP_2) | instskip(NEXT) | instid1(VALU_DEP_1)
	v_mad_nc_u64_u32 v[2:3], v2, 24, v[12:13]
	v_mad_u32 v3, v5, 24, v3
	global_load_b64 v[8:9], v[2:3], off scope:SCOPE_SYS
	s_wait_xcnt 0x0
	s_wait_loadcnt 0x0
	global_atomic_cmpswap_b64 v[2:3], v4, v[8:11], s[2:3] offset:24 th:TH_ATOMIC_RETURN scope:SCOPE_SYS
	s_wait_loadcnt 0x0
	global_inv scope:SCOPE_SYS
	v_cmp_eq_u64_e32 vcc_lo, v[2:3], v[10:11]
	s_or_b32 s5, vcc_lo, s5
	s_wait_xcnt 0x0
	s_and_not1_b32 exec_lo, exec_lo, s5
	s_cbranch_execnz .LBB1_369
; %bb.370:
	s_or_b32 exec_lo, exec_lo, s5
.LBB1_371:
	s_delay_alu instid0(SALU_CYCLE_1)
	s_or_b32 exec_lo, exec_lo, s4
.LBB1_372:
	s_delay_alu instid0(SALU_CYCLE_1)
	s_or_b32 exec_lo, exec_lo, s1
	v_readfirstlane_b32 s4, v2
	v_mov_b32_e32 v35, 0
	v_readfirstlane_b32 s5, v3
	s_mov_b32 s1, exec_lo
	s_clause 0x1
	global_load_b64 v[4:5], v35, s[2:3] offset:40
	global_load_b128 v[8:11], v35, s[2:3]
	s_wait_loadcnt 0x1
	v_and_b32_e32 v2, s4, v4
	v_and_b32_e32 v3, s5, v5
	s_delay_alu instid0(VALU_DEP_1) | instskip(SKIP_1) | instid1(VALU_DEP_1)
	v_mul_u64_e32 v[4:5], 24, v[2:3]
	s_wait_loadcnt 0x0
	v_add_nc_u64_e32 v[4:5], v[8:9], v[4:5]
	s_wait_xcnt 0x0
	s_and_saveexec_b32 s7, s0
	s_cbranch_execz .LBB1_374
; %bb.373:
	v_mov_b64_e32 v[14:15], 0x100000002
	v_dual_mov_b32 v12, s1 :: v_dual_mov_b32 v13, v35
	global_store_b128 v[4:5], v[12:15], off offset:8
.LBB1_374:
	s_wait_xcnt 0x0
	s_or_b32 exec_lo, exec_lo, s7
	v_lshlrev_b64_e32 v[2:3], 12, v[2:3]
	s_mov_b32 s12, 0
	v_and_or_b32 v0, 0xffffff1f, v0, 32
	s_mov_b32 s13, s12
	s_mov_b32 s14, s12
	;; [unrolled: 1-line block ×3, first 2 shown]
	v_mov_b64_e32 v[12:13], s[12:13]
	v_add_nc_u64_e32 v[10:11], v[10:11], v[2:3]
	v_mov_b64_e32 v[14:15], s[14:15]
	v_dual_mov_b32 v2, v35 :: v_dual_mov_b32 v3, v35
	s_delay_alu instid0(VALU_DEP_3) | instskip(NEXT) | instid1(VALU_DEP_4)
	v_readfirstlane_b32 s10, v10
	v_readfirstlane_b32 s11, v11
	s_clause 0x3
	global_store_b128 v34, v[0:3], s[10:11]
	global_store_b128 v34, v[12:15], s[10:11] offset:16
	global_store_b128 v34, v[12:15], s[10:11] offset:32
	;; [unrolled: 1-line block ×3, first 2 shown]
	s_wait_xcnt 0x0
	s_and_saveexec_b32 s1, s0
	s_cbranch_execz .LBB1_382
; %bb.375:
	v_dual_mov_b32 v12, 0 :: v_dual_mov_b32 v15, s5
	s_mov_b32 s7, exec_lo
	s_clause 0x1
	global_load_b64 v[16:17], v12, s[2:3] offset:32 scope:SCOPE_SYS
	global_load_b64 v[0:1], v12, s[2:3] offset:40
	s_wait_loadcnt 0x0
	v_dual_mov_b32 v14, s4 :: v_dual_bitop2_b32 v1, s5, v1 bitop3:0x40
	v_and_b32_e32 v0, s4, v0
	s_delay_alu instid0(VALU_DEP_1) | instskip(NEXT) | instid1(VALU_DEP_1)
	v_mul_u64_e32 v[0:1], 24, v[0:1]
	v_add_nc_u64_e32 v[8:9], v[8:9], v[0:1]
	global_store_b64 v[8:9], v[16:17], off
	global_wb scope:SCOPE_SYS
	s_wait_storecnt 0x0
	s_wait_xcnt 0x0
	global_atomic_cmpswap_b64 v[2:3], v12, v[14:17], s[2:3] offset:32 th:TH_ATOMIC_RETURN scope:SCOPE_SYS
	s_wait_loadcnt 0x0
	v_cmpx_ne_u64_e64 v[2:3], v[16:17]
	s_cbranch_execz .LBB1_378
; %bb.376:
	s_mov_b32 s10, 0
.LBB1_377:                              ; =>This Inner Loop Header: Depth=1
	v_dual_mov_b32 v0, s4 :: v_dual_mov_b32 v1, s5
	s_sleep 1
	global_store_b64 v[8:9], v[2:3], off
	global_wb scope:SCOPE_SYS
	s_wait_storecnt 0x0
	s_wait_xcnt 0x0
	global_atomic_cmpswap_b64 v[0:1], v12, v[0:3], s[2:3] offset:32 th:TH_ATOMIC_RETURN scope:SCOPE_SYS
	s_wait_loadcnt 0x0
	v_cmp_eq_u64_e32 vcc_lo, v[0:1], v[2:3]
	v_mov_b64_e32 v[2:3], v[0:1]
	s_or_b32 s10, vcc_lo, s10
	s_delay_alu instid0(SALU_CYCLE_1)
	s_and_not1_b32 exec_lo, exec_lo, s10
	s_cbranch_execnz .LBB1_377
.LBB1_378:
	s_or_b32 exec_lo, exec_lo, s7
	v_mov_b32_e32 v3, 0
	s_mov_b32 s10, exec_lo
	s_mov_b32 s7, exec_lo
	v_mbcnt_lo_u32_b32 v2, s10, 0
	global_load_b64 v[0:1], v3, s[2:3] offset:16
	s_wait_xcnt 0x0
	v_cmpx_eq_u32_e32 0, v2
	s_cbranch_execz .LBB1_380
; %bb.379:
	s_bcnt1_i32_b32 s10, s10
	s_delay_alu instid0(SALU_CYCLE_1)
	v_mov_b32_e32 v2, s10
	global_wb scope:SCOPE_SYS
	s_wait_loadcnt 0x0
	s_wait_storecnt 0x0
	global_atomic_add_u64 v[0:1], v[2:3], off offset:8 scope:SCOPE_SYS
.LBB1_380:
	s_wait_xcnt 0x0
	s_or_b32 exec_lo, exec_lo, s7
	s_wait_loadcnt 0x0
	global_load_b64 v[2:3], v[0:1], off offset:16
	s_wait_loadcnt 0x0
	v_cmp_eq_u64_e32 vcc_lo, 0, v[2:3]
	s_cbranch_vccnz .LBB1_382
; %bb.381:
	global_load_b32 v0, v[0:1], off offset:24
	s_wait_xcnt 0x0
	v_mov_b32_e32 v1, 0
	s_wait_loadcnt 0x0
	v_readfirstlane_b32 s7, v0
	global_wb scope:SCOPE_SYS
	s_wait_storecnt 0x0
	global_store_b64 v[2:3], v[0:1], off scope:SCOPE_SYS
	s_and_b32 m0, s7, 0xffffff
	s_sendmsg sendmsg(MSG_INTERRUPT)
.LBB1_382:
	s_wait_xcnt 0x0
	s_or_b32 exec_lo, exec_lo, s1
	v_add_nc_u64_e32 v[0:1], v[10:11], v[34:35]
	s_branch .LBB1_386
.LBB1_383:                              ;   in Loop: Header=BB1_386 Depth=1
	s_wait_xcnt 0x0
	s_or_b32 exec_lo, exec_lo, s1
	s_delay_alu instid0(VALU_DEP_1)
	v_readfirstlane_b32 s1, v2
	s_cmp_eq_u32 s1, 0
	s_cbranch_scc1 .LBB1_385
; %bb.384:                              ;   in Loop: Header=BB1_386 Depth=1
	s_sleep 1
	s_cbranch_execnz .LBB1_386
	s_branch .LBB1_388
.LBB1_385:
	s_branch .LBB1_388
.LBB1_386:                              ; =>This Inner Loop Header: Depth=1
	v_mov_b32_e32 v2, 1
	s_and_saveexec_b32 s1, s0
	s_cbranch_execz .LBB1_383
; %bb.387:                              ;   in Loop: Header=BB1_386 Depth=1
	global_load_b32 v2, v[4:5], off offset:20 scope:SCOPE_SYS
	s_wait_loadcnt 0x0
	global_inv scope:SCOPE_SYS
	v_and_b32_e32 v2, 1, v2
	s_branch .LBB1_383
.LBB1_388:
	global_load_b64 v[0:1], v[0:1], off
	s_wait_xcnt 0x0
	s_and_saveexec_b32 s7, s0
	s_cbranch_execz .LBB1_392
; %bb.389:
	v_mov_b32_e32 v10, 0
	s_clause 0x2
	global_load_b64 v[2:3], v10, s[2:3] offset:40
	global_load_b64 v[14:15], v10, s[2:3] offset:24 scope:SCOPE_SYS
	global_load_b64 v[4:5], v10, s[2:3]
	s_wait_loadcnt 0x2
	v_readfirstlane_b32 s10, v2
	v_readfirstlane_b32 s11, v3
	s_add_nc_u64 s[0:1], s[10:11], 1
	s_delay_alu instid0(SALU_CYCLE_1) | instskip(NEXT) | instid1(SALU_CYCLE_1)
	s_add_nc_u64 s[4:5], s[0:1], s[4:5]
	s_cmp_eq_u64 s[4:5], 0
	s_cselect_b32 s1, s1, s5
	s_cselect_b32 s0, s0, s4
	v_mov_b32_e32 v13, s1
	s_and_b64 s[4:5], s[0:1], s[10:11]
	v_mov_b32_e32 v12, s0
	s_mul_u64 s[4:5], s[4:5], 24
	s_wait_loadcnt 0x0
	v_add_nc_u64_e32 v[8:9], s[4:5], v[4:5]
	global_store_b64 v[8:9], v[14:15], off
	global_wb scope:SCOPE_SYS
	s_wait_storecnt 0x0
	s_wait_xcnt 0x0
	global_atomic_cmpswap_b64 v[4:5], v10, v[12:15], s[2:3] offset:24 th:TH_ATOMIC_RETURN scope:SCOPE_SYS
	s_wait_loadcnt 0x0
	v_cmp_ne_u64_e32 vcc_lo, v[4:5], v[14:15]
	s_and_b32 exec_lo, exec_lo, vcc_lo
	s_cbranch_execz .LBB1_392
; %bb.390:
	s_mov_b32 s4, 0
.LBB1_391:                              ; =>This Inner Loop Header: Depth=1
	v_dual_mov_b32 v2, s0 :: v_dual_mov_b32 v3, s1
	s_sleep 1
	global_store_b64 v[8:9], v[4:5], off
	global_wb scope:SCOPE_SYS
	s_wait_storecnt 0x0
	s_wait_xcnt 0x0
	global_atomic_cmpswap_b64 v[2:3], v10, v[2:5], s[2:3] offset:24 th:TH_ATOMIC_RETURN scope:SCOPE_SYS
	s_wait_loadcnt 0x0
	v_cmp_eq_u64_e32 vcc_lo, v[2:3], v[4:5]
	v_mov_b64_e32 v[4:5], v[2:3]
	s_or_b32 s4, vcc_lo, s4
	s_delay_alu instid0(SALU_CYCLE_1)
	s_and_not1_b32 exec_lo, exec_lo, s4
	s_cbranch_execnz .LBB1_391
.LBB1_392:
	s_or_b32 exec_lo, exec_lo, s7
.LBB1_393:
	s_delay_alu instid0(SALU_CYCLE_1)
	s_or_b32 exec_lo, exec_lo, s6
	v_mov_b64_e32 v[2:3], v[6:7]
	s_mov_b32 s0, 0
.LBB1_394:                              ; =>This Inner Loop Header: Depth=1
	global_load_u8 v4, v[2:3], off
	s_wait_xcnt 0x0
	v_add_nc_u64_e32 v[2:3], 1, v[2:3]
	s_wait_loadcnt 0x0
	v_cmp_eq_u16_e32 vcc_lo, 0, v4
	s_or_b32 s0, vcc_lo, s0
	s_delay_alu instid0(SALU_CYCLE_1)
	s_and_not1_b32 exec_lo, exec_lo, s0
	s_cbranch_execnz .LBB1_394
; %bb.395:
	s_or_b32 exec_lo, exec_lo, s0
	v_dual_mov_b32 v3, v7 :: v_dual_sub_nc_u32 v4, v2, v6
	s_get_pc_i64 s[0:1]
	s_add_nc_u64 s[0:1], s[0:1], __ockl_fprintf_append_string_n@rel64+4
	v_dual_mov_b32 v2, v6 :: v_dual_mov_b32 v6, 1
	s_delay_alu instid0(VALU_DEP_2)
	v_ashrrev_i32_e32 v5, 31, v4
	s_swap_pc_i64 s[30:31], s[0:1]
	s_trap 2
.Lfunc_end1:
	.size	__assert_fail, .Lfunc_end1-__assert_fail
                                        ; -- End function
	.set .L__assert_fail.num_vgpr, max(53, .L__ockl_fprintf_append_string_n.num_vgpr)
	.set .L__assert_fail.num_agpr, max(0, .L__ockl_fprintf_append_string_n.num_agpr)
	.set .L__assert_fail.numbered_sgpr, max(34, .L__ockl_fprintf_append_string_n.numbered_sgpr)
	.set .L__assert_fail.num_named_barrier, max(0, .L__ockl_fprintf_append_string_n.num_named_barrier)
	.set .L__assert_fail.private_seg_size, 64+max(.L__ockl_fprintf_append_string_n.private_seg_size)
	.set .L__assert_fail.uses_vcc, or(1, .L__ockl_fprintf_append_string_n.uses_vcc)
	.set .L__assert_fail.uses_flat_scratch, or(1, .L__ockl_fprintf_append_string_n.uses_flat_scratch)
	.set .L__assert_fail.has_dyn_sized_stack, or(0, .L__ockl_fprintf_append_string_n.has_dyn_sized_stack)
	.set .L__assert_fail.has_recursion, or(0, .L__ockl_fprintf_append_string_n.has_recursion)
	.set .L__assert_fail.has_indirect_call, or(0, .L__ockl_fprintf_append_string_n.has_indirect_call)
	.section	.AMDGPU.csdata,"",@progbits
; Function info:
; codeLenInByte = 15764
; TotalNumSgprs: 36
; NumVgprs: 53
; ScratchSize: 64
; MemoryBound: 0
	.section	.text._ZN9rocsolver6v33100L18potf2_kernel_smallI19rocblas_complex_numIfEiiPS3_EEvbT0_T2_lS5_lPT1_,"axG",@progbits,_ZN9rocsolver6v33100L18potf2_kernel_smallI19rocblas_complex_numIfEiiPS3_EEvbT0_T2_lS5_lPT1_,comdat
	.globl	_ZN9rocsolver6v33100L18potf2_kernel_smallI19rocblas_complex_numIfEiiPS3_EEvbT0_T2_lS5_lPT1_ ; -- Begin function _ZN9rocsolver6v33100L18potf2_kernel_smallI19rocblas_complex_numIfEiiPS3_EEvbT0_T2_lS5_lPT1_
	.p2align	8
	.type	_ZN9rocsolver6v33100L18potf2_kernel_smallI19rocblas_complex_numIfEiiPS3_EEvbT0_T2_lS5_lPT1_,@function
_ZN9rocsolver6v33100L18potf2_kernel_smallI19rocblas_complex_numIfEiiPS3_EEvbT0_T2_lS5_lPT1_: ; @_ZN9rocsolver6v33100L18potf2_kernel_smallI19rocblas_complex_numIfEiiPS3_EEvbT0_T2_lS5_lPT1_
; %bb.0:
	s_load_b64 s[44:45], s[0:1], 0x3c
	v_mov_b32_e32 v41, v0
	s_mov_b64 s[22:23], s[0:1]
	s_mov_b32 s32, 0
	s_wait_kmcnt 0x0
	s_and_b32 s0, s45, 0xffff
	s_delay_alu instid0(SALU_CYCLE_1)
	s_cmp_eq_u32 s0, 1
	s_cbranch_scc1 .LBB2_2
; %bb.1:
	s_get_pc_i64 s[0:1]
	s_add_nc_u64 s[0:1], s[0:1], .str@rel64+4
	s_get_pc_i64 s[2:3]
	s_add_nc_u64 s[2:3], s[2:3], __PRETTY_FUNCTION__._ZN9rocsolver6v33100L18potf2_kernel_smallI19rocblas_complex_numIfEiiPS3_EEvbT0_T2_lS5_lPT1_@rel64+4
	v_dual_mov_b32 v0, s0 :: v_dual_mov_b32 v1, s1
	v_dual_mov_b32 v2, 0x125 :: v_dual_mov_b32 v3, s2
	v_mov_b32_e32 v4, s3
	s_add_nc_u64 s[8:9], s[22:23], 48
	s_get_pc_i64 s[4:5]
	s_add_nc_u64 s[4:5], s[4:5], __assert_fail@rel64+4
	s_delay_alu instid0(SALU_CYCLE_1)
	s_swap_pc_i64 s[30:31], s[4:5]
	s_mov_b32 s45, -1
	s_cbranch_execz .LBB2_3
	s_branch .LBB2_114
.LBB2_2:
	s_mov_b32 s45, 0
.LBB2_3:
	s_load_b128 s[24:27], s[22:23], 0x8
	s_wait_kmcnt 0x0
	s_cmp_lg_u64 s[24:25], 0
	s_cbranch_scc0 .LBB2_22
; %bb.4:
	s_load_b128 s[36:39], s[22:23], 0x20
	s_wait_kmcnt 0x0
	s_cmp_lg_u64 s[38:39], 0
	s_cbranch_scc0 .LBB2_23
; %bb.5:
	s_cmp_lg_u64 s[24:25], 0
	s_cbranch_scc0 .LBB2_24
; %bb.6:
	s_clause 0x1
	s_load_b64 s[34:35], s[22:23], 0x0
	s_load_b32 s40, s[22:23], 0x18
	s_bfe_u32 s1, ttmp6, 0x40014
	s_lshr_b32 s0, ttmp7, 16
	s_add_co_i32 s1, s1, 1
	s_bfe_u32 s2, ttmp6, 0x40008
	s_mul_i32 s1, s0, s1
	s_getreg_b32 s3, hwreg(HW_REG_IB_STS2, 6, 4)
	s_add_co_i32 s2, s2, s1
	s_cmp_eq_u32 s3, 0
	s_mov_b32 s29, 0
	s_cselect_b32 s28, s0, s2
	v_bfe_u32 v43, v41, 10, 10
	s_mul_u64 s[2:3], s[36:37], s[28:29]
	s_lshl_b64 s[26:27], s[26:27], 3
	s_lshl_b64 s[36:37], s[2:3], 3
	v_and_b32_e32 v42, 0x3ff, v41
	s_add_nc_u64 s[2:3], s[24:25], s[36:37]
	s_mov_b32 s1, -1
	s_add_nc_u64 s[42:43], s[2:3], s[26:27]
	s_wait_kmcnt 0x0
	s_bitcmp1_b32 s34, 0
	v_cmp_gt_i32_e64 s21, s35, v43
	s_cselect_b32 s0, -1, 0
	s_lshr_b32 s34, s44, 16
	s_xor_b32 s47, s0, -1
	s_and_b32 s44, s44, 0xffff
	s_and_b32 vcc_lo, exec_lo, s47
	s_wait_storecnt 0x0
	s_barrier_signal -1
	s_barrier_wait -1
	s_cbranch_vccz .LBB2_25
; %bb.7:
	s_mov_b32 s0, -1
	s_and_saveexec_b32 s46, s21
	s_cbranch_execz .LBB2_37
; %bb.8:
	v_dual_add_nc_u32 v6, v43, v42 :: v_dual_mov_b32 v0, v43
	v_lshl_add_u32 v7, v42, 3, 0
	s_lshl_b32 s0, s35, 1
	s_ashr_i32 s41, s40, 31
	s_or_b32 s6, s0, 1
	s_mov_b32 s4, 0
	s_lshl_b32 s7, s44, 3
                                        ; implicit-def: $sgpr5
                                        ; implicit-def: $sgpr3
                                        ; implicit-def: $sgpr2
                                        ; implicit-def: $sgpr8
	s_branch .LBB2_10
.LBB2_9:                                ;   in Loop: Header=BB2_10 Depth=1
	s_or_b32 exec_lo, exec_lo, s11
	s_xor_b32 s0, s9, -1
	s_xor_b32 s9, s10, -1
	s_and_b32 s1, exec_lo, s1
	s_delay_alu instid0(SALU_CYCLE_1)
	s_or_b32 s4, s1, s4
	s_and_not1_b32 s1, s2, exec_lo
	s_and_b32 s2, s8, exec_lo
	s_and_b32 s0, s0, exec_lo
	s_or_b32 s2, s1, s2
	s_and_not1_b32 s1, s3, exec_lo
	s_and_not1_b32 s5, s5, exec_lo
	s_and_b32 s9, s9, exec_lo
	s_or_b32 s3, s1, s0
	s_or_b32 s5, s5, s9
	s_and_not1_b32 exec_lo, exec_lo, s4
	s_cbranch_execz .LBB2_26
.LBB2_10:                               ; =>This Loop Header: Depth=1
                                        ;     Child Loop BB2_15 Depth 2
	v_add_nc_u32_e32 v2, v0, v42
	s_mov_b32 s0, -1
	s_mov_b32 s11, exec_lo
                                        ; implicit-def: $sgpr10
                                        ; implicit-def: $sgpr9
                                        ; implicit-def: $sgpr12
	s_delay_alu instid0(VALU_DEP_1)
	v_cmpx_gt_i32_e64 s35, v2
	s_cbranch_execz .LBB2_20
; %bb.11:                               ;   in Loop: Header=BB2_10 Depth=1
	v_ashrrev_i32_e32 v1, 31, v0
	v_cmp_ge_u32_e64 s0, v6, v0
	s_mov_b32 s13, 0
	v_cmp_lt_i32_e32 vcc_lo, -1, v0
                                        ; implicit-def: $sgpr14
                                        ; implicit-def: $sgpr12
                                        ; implicit-def: $sgpr9
                                        ; implicit-def: $sgpr10
                                        ; implicit-def: $sgpr16
                                        ; implicit-def: $sgpr19
                                        ; implicit-def: $sgpr17
                                        ; implicit-def: $sgpr15
                                        ; implicit-def: $sgpr18
	v_mul_u64_e32 v[4:5], s[40:41], v[0:1]
	v_sub_nc_u32_e32 v1, s6, v0
	s_delay_alu instid0(VALU_DEP_1) | instskip(NEXT) | instid1(VALU_DEP_1)
	v_mul_lo_u32 v1, v1, v0
	v_lshrrev_b32_e32 v3, 31, v1
	s_delay_alu instid0(VALU_DEP_1) | instskip(NEXT) | instid1(VALU_DEP_1)
	v_add_lshl_u32 v1, v1, v3, 2
	v_and_b32_e32 v1, -8, v1
	s_delay_alu instid0(VALU_DEP_1)
	v_add_nc_u32_e32 v1, v7, v1
	v_lshl_add_u64 v[4:5], v[4:5], 3, s[42:43]
	s_branch .LBB2_15
.LBB2_12:                               ;   in Loop: Header=BB2_15 Depth=2
	s_wait_xcnt 0x0
	s_or_b32 exec_lo, exec_lo, s33
	s_delay_alu instid0(SALU_CYCLE_1)
	s_mov_b32 s1, exec_lo
	s_or_not1_b32 s48, s48, exec_lo
	s_xor_b32 s33, exec_lo, -1
	s_or_not1_b32 s31, s31, exec_lo
.LBB2_13:                               ;   in Loop: Header=BB2_15 Depth=2
	s_or_b32 exec_lo, exec_lo, s30
	s_delay_alu instid0(SALU_CYCLE_1)
	s_and_not1_b32 s18, s18, exec_lo
	s_and_b32 s30, s48, exec_lo
	s_and_not1_b32 s17, s17, exec_lo
	s_or_b32 s18, s18, s30
	s_and_b32 s30, s33, exec_lo
	s_and_not1_b32 s19, s19, exec_lo
	s_or_b32 s17, s17, s30
	s_and_b32 s1, s1, exec_lo
	s_and_not1_b32 s16, s16, exec_lo
	s_and_b32 s30, s31, exec_lo
	s_and_not1_b32 s15, s15, exec_lo
	s_or_b32 s19, s19, s1
	s_or_b32 s16, s16, s30
.LBB2_14:                               ;   in Loop: Header=BB2_15 Depth=2
	s_or_b32 exec_lo, exec_lo, s20
	s_xor_b32 s1, s18, -1
	s_and_b32 s20, exec_lo, s16
	s_delay_alu instid0(SALU_CYCLE_1)
	s_or_b32 s13, s20, s13
	s_and_not1_b32 s10, s10, exec_lo
	s_and_b32 s20, s15, exec_lo
	s_and_not1_b32 s9, s9, exec_lo
	s_and_b32 s30, s17, exec_lo
	s_or_b32 s10, s10, s20
	s_and_not1_b32 s12, s12, exec_lo
	s_and_b32 s20, s19, exec_lo
	s_and_not1_b32 s14, s14, exec_lo
	s_and_b32 s1, s1, exec_lo
	s_or_b32 s9, s9, s30
	s_or_b32 s12, s12, s20
	;; [unrolled: 1-line block ×3, first 2 shown]
	s_and_not1_b32 exec_lo, exec_lo, s13
	s_cbranch_execz .LBB2_19
.LBB2_15:                               ;   Parent Loop BB2_10 Depth=1
                                        ; =>  This Inner Loop Header: Depth=2
	s_or_b32 s18, s18, exec_lo
	s_or_b32 s15, s15, exec_lo
	s_and_not1_b32 s17, s17, exec_lo
	s_and_not1_b32 s19, s19, exec_lo
	s_or_b32 s16, s16, exec_lo
	s_mov_b32 s20, exec_lo
	v_cmpx_lt_i32_e32 -1, v2
	s_cbranch_execz .LBB2_14
; %bb.16:                               ;   in Loop: Header=BB2_15 Depth=2
	s_mov_b32 s1, 0
	s_mov_b32 s31, -1
	s_mov_b32 s33, -1
	;; [unrolled: 1-line block ×3, first 2 shown]
	s_and_saveexec_b32 s30, vcc_lo
	s_cbranch_execz .LBB2_13
; %bb.17:                               ;   in Loop: Header=BB2_15 Depth=2
	s_and_saveexec_b32 s33, s0
	s_cbranch_execz .LBB2_12
; %bb.18:                               ;   in Loop: Header=BB2_15 Depth=2
	v_ashrrev_i32_e32 v3, 31, v2
	s_xor_b32 s48, exec_lo, -1
	s_delay_alu instid0(VALU_DEP_1)
	v_lshl_add_u64 v[8:9], v[2:3], 3, v[4:5]
	v_add_nc_u32_e32 v2, s44, v2
	global_load_b64 v[8:9], v[8:9], off
	v_cmp_le_i32_e64 s1, s35, v2
	s_or_not1_b32 s31, s1, exec_lo
	s_wait_loadcnt 0x0
	ds_store_2addr_b32 v1, v8, v9 offset1:1
	v_add_nc_u32_e32 v1, s7, v1
	s_branch .LBB2_12
.LBB2_19:                               ;   in Loop: Header=BB2_10 Depth=1
	s_or_b32 exec_lo, exec_lo, s13
	s_delay_alu instid0(SALU_CYCLE_1)
	s_or_not1_b32 s0, s14, exec_lo
.LBB2_20:                               ;   in Loop: Header=BB2_10 Depth=1
	s_or_b32 exec_lo, exec_lo, s11
	s_delay_alu instid0(SALU_CYCLE_1)
	s_and_not1_b32 s8, s8, exec_lo
	s_and_b32 s11, s12, exec_lo
	s_mov_b32 s1, -1
	s_or_b32 s8, s8, s11
	s_and_saveexec_b32 s11, s0
	s_cbranch_execz .LBB2_9
; %bb.21:                               ;   in Loop: Header=BB2_10 Depth=1
	v_dual_add_nc_u32 v0, s34, v0 :: v_dual_add_nc_u32 v6, s34, v6
	s_and_not1_b32 s8, s8, exec_lo
	s_and_not1_b32 s9, s9, exec_lo
	;; [unrolled: 1-line block ×3, first 2 shown]
	s_delay_alu instid0(VALU_DEP_1)
	v_cmp_le_i32_e32 vcc_lo, s35, v0
	s_or_not1_b32 s1, vcc_lo, exec_lo
	s_branch .LBB2_9
.LBB2_22:
	s_cbranch_execnz .LBB2_113
	s_branch .LBB2_114
.LBB2_23:
	s_cbranch_execnz .LBB2_111
	s_branch .LBB2_112
.LBB2_24:
	s_cbranch_execnz .LBB2_109
	s_branch .LBB2_110
.LBB2_25:
	s_mov_b32 s0, s29
	s_and_b32 vcc_lo, exec_lo, s1
	s_cbranch_vccnz .LBB2_38
	s_branch .LBB2_51
.LBB2_26:
	s_or_b32 exec_lo, exec_lo, s4
	s_mov_b32 s48, 0
	s_mov_b32 s50, s45
	s_and_saveexec_b32 s0, s5
	s_delay_alu instid0(SALU_CYCLE_1)
	s_xor_b32 s41, exec_lo, s0
	s_cbranch_execz .LBB2_34
; %bb.27:
	s_mov_b32 s49, 0
	s_mov_b32 s50, s45
	s_and_saveexec_b32 s0, s3
	s_delay_alu instid0(SALU_CYCLE_1)
	s_xor_b32 s48, exec_lo, s0
	s_cbranch_execz .LBB2_31
; %bb.28:
	s_mov_b32 s0, -1
	s_mov_b32 s1, s45
	s_and_saveexec_b32 s3, s2
	s_delay_alu instid0(SALU_CYCLE_1)
	s_xor_b32 s49, exec_lo, s3
	s_cbranch_execz .LBB2_30
; %bb.29:
	s_get_pc_i64 s[0:1]
	s_add_nc_u64 s[0:1], s[0:1], .str.10@rel64+4
	s_get_pc_i64 s[2:3]
	s_add_nc_u64 s[2:3], s[2:3], __PRETTY_FUNCTION__._ZN9rocsolver6v33100L9idx_lowerIiEET_S2_S2_S2_@rel64+4
	v_dual_mov_b32 v0, s0 :: v_dual_mov_b32 v1, s1
	v_dual_mov_b32 v2, 0x51 :: v_dual_mov_b32 v3, s2
	v_mov_b32_e32 v4, s3
	s_add_nc_u64 s[8:9], s[22:23], 48
	s_get_pc_i64 s[4:5]
	s_add_nc_u64 s[4:5], s[4:5], __assert_fail@rel64+4
	s_delay_alu instid0(SALU_CYCLE_1)
	s_swap_pc_i64 s[30:31], s[4:5]
	s_or_b32 s1, s45, exec_lo
	s_xor_b32 s0, exec_lo, -1
.LBB2_30:
	s_or_b32 exec_lo, exec_lo, s49
	s_delay_alu instid0(SALU_CYCLE_1)
	s_and_not1_b32 s2, s45, exec_lo
	s_and_b32 s1, s1, exec_lo
	s_and_b32 s49, s0, exec_lo
	s_or_b32 s50, s2, s1
.LBB2_31:
	s_and_not1_saveexec_b32 s48, s48
	s_cbranch_execz .LBB2_33
; %bb.32:
	s_get_pc_i64 s[0:1]
	s_add_nc_u64 s[0:1], s[0:1], .str.9@rel64+4
	s_get_pc_i64 s[2:3]
	s_add_nc_u64 s[2:3], s[2:3], __PRETTY_FUNCTION__._ZN9rocsolver6v33100L9idx_lowerIiEET_S2_S2_S2_@rel64+4
	v_dual_mov_b32 v0, s0 :: v_dual_mov_b32 v1, s1
	v_dual_mov_b32 v2, 0x50 :: v_dual_mov_b32 v3, s2
	v_mov_b32_e32 v4, s3
	s_add_nc_u64 s[8:9], s[22:23], 48
	s_get_pc_i64 s[4:5]
	s_add_nc_u64 s[4:5], s[4:5], __assert_fail@rel64+4
	s_delay_alu instid0(SALU_CYCLE_1)
	s_swap_pc_i64 s[30:31], s[4:5]
	s_or_b32 s50, s50, exec_lo
.LBB2_33:
	s_or_b32 exec_lo, exec_lo, s48
	s_delay_alu instid0(SALU_CYCLE_1)
	s_and_not1_b32 s0, s45, exec_lo
	s_and_b32 s1, s50, exec_lo
	s_and_b32 s48, s49, exec_lo
	s_or_b32 s50, s0, s1
.LBB2_34:
	s_and_not1_saveexec_b32 s41, s41
	s_cbranch_execz .LBB2_36
; %bb.35:
	s_get_pc_i64 s[0:1]
	s_add_nc_u64 s[0:1], s[0:1], .str.8@rel64+4
	s_get_pc_i64 s[2:3]
	s_add_nc_u64 s[2:3], s[2:3], __PRETTY_FUNCTION__._ZN9rocsolver6v33100L9idx_lowerIiEET_S2_S2_S2_@rel64+4
	v_dual_mov_b32 v0, s0 :: v_dual_mov_b32 v1, s1
	v_dual_mov_b32 v2, 0x4f :: v_dual_mov_b32 v3, s2
	v_mov_b32_e32 v4, s3
	s_add_nc_u64 s[8:9], s[22:23], 48
	s_get_pc_i64 s[4:5]
	s_add_nc_u64 s[4:5], s[4:5], __assert_fail@rel64+4
	s_delay_alu instid0(SALU_CYCLE_1)
	s_swap_pc_i64 s[30:31], s[4:5]
	s_or_b32 s50, s50, exec_lo
.LBB2_36:
	s_or_b32 exec_lo, exec_lo, s41
	s_delay_alu instid0(SALU_CYCLE_1) | instskip(SKIP_1) | instid1(SALU_CYCLE_1)
	s_and_not1_b32 s0, s45, exec_lo
	s_and_b32 s1, s50, exec_lo
	s_or_b32 s45, s0, s1
	s_or_not1_b32 s0, s48, exec_lo
.LBB2_37:
	s_or_b32 exec_lo, exec_lo, s46
	s_branch .LBB2_51
.LBB2_38:
	s_mov_b32 s0, -1
	s_mov_b32 s29, 0
	s_and_saveexec_b32 s4, s21
	s_cbranch_execz .LBB2_50
; %bb.39:
	v_dual_lshlrev_b32 v2, 3, v43 :: v_dual_lshlrev_b32 v0, 3, v42
	v_mov_b32_e32 v1, 0
	s_add_nc_u64 s[0:1], s[36:37], s[26:27]
	s_ashr_i32 s41, s40, 31
	s_add_nc_u64 s[0:1], s[24:25], s[0:1]
	v_sub_nc_u32_e32 v2, v2, v0
	v_add_nc_u64_e32 v[0:1], s[0:1], v[0:1]
	s_lshl_b32 s0, s35, 1
	s_delay_alu instid0(SALU_CYCLE_1) | instskip(NEXT) | instid1(VALU_DEP_3)
	v_dual_mov_b32 v6, v43 :: v_dual_sub_nc_u32 v3, s0, v42
	v_add_nc_u32_e32 v4, 0, v2
	s_mov_b32 s1, 0
	s_lshl_b32 s0, s44, 3
	s_delay_alu instid0(VALU_DEP_3)
	v_add_nc_u64_e32 v[0:1], 4, v[0:1]
	v_add_nc_u32_e32 v5, 1, v3
	s_lshl_b32 s5, s34, 3
	s_sub_co_i32 s6, 0, s0
	s_lshl_b64 s[2:3], s[40:41], 3
	s_mov_b32 s7, s1
                                        ; implicit-def: $sgpr8
	s_branch .LBB2_41
.LBB2_40:                               ;   in Loop: Header=BB2_41 Depth=1
	s_or_b32 exec_lo, exec_lo, s11
	s_xor_b32 s10, s10, -1
	s_and_b32 s9, exec_lo, s9
	s_delay_alu instid0(SALU_CYCLE_1) | instskip(SKIP_2) | instid1(SALU_CYCLE_1)
	s_or_b32 s7, s9, s7
	s_and_not1_b32 s8, s8, exec_lo
	s_and_b32 s9, s10, exec_lo
	s_or_b32 s8, s8, s9
	s_and_not1_b32 exec_lo, exec_lo, s7
	s_cbranch_execz .LBB2_49
.LBB2_41:                               ; =>This Loop Header: Depth=1
                                        ;     Child Loop BB2_44 Depth 2
	s_mov_b32 s12, -1
	s_mov_b32 s9, exec_lo
	v_cmpx_le_i32_e64 v42, v6
	s_cbranch_execz .LBB2_47
; %bb.42:                               ;   in Loop: Header=BB2_41 Depth=1
	v_mad_nc_u64_u32 v[2:3], s2, v6, v[0:1]
	v_dual_mov_b32 v7, v5 :: v_dual_mov_b32 v8, v4
	v_mov_b32_e32 v9, v42
	s_mov_b32 s10, 0
                                        ; implicit-def: $sgpr11
                                        ; implicit-def: $sgpr13
                                        ; implicit-def: $sgpr12
	s_delay_alu instid0(VALU_DEP_3)
	v_mad_u32 v3, s3, v6, v3
	s_branch .LBB2_44
.LBB2_43:                               ;   in Loop: Header=BB2_44 Depth=2
	s_or_b32 exec_lo, exec_lo, s14
	s_xor_b32 s14, s12, -1
	s_and_b32 s15, exec_lo, s13
	s_delay_alu instid0(SALU_CYCLE_1) | instskip(SKIP_2) | instid1(SALU_CYCLE_1)
	s_or_b32 s10, s15, s10
	s_and_not1_b32 s11, s11, exec_lo
	s_and_b32 s14, s14, exec_lo
	s_or_b32 s11, s11, s14
	s_and_not1_b32 exec_lo, exec_lo, s10
	s_cbranch_execz .LBB2_46
.LBB2_44:                               ;   Parent Loop BB2_41 Depth=1
                                        ; =>  This Inner Loop Header: Depth=2
	s_or_b32 s12, s12, exec_lo
	s_or_b32 s13, s13, exec_lo
	s_mov_b32 s14, exec_lo
	v_cmpx_lt_i32_e32 -1, v9
	s_cbranch_execz .LBB2_43
; %bb.45:                               ;   in Loop: Header=BB2_44 Depth=2
	global_load_b64 v[10:11], v[2:3], off offset:-4
	v_mul_lo_u32 v12, v7, v9
	s_wait_xcnt 0x0
	v_add_nc_u64_e32 v[2:3], s[0:1], v[2:3]
	v_subrev_nc_u32_e32 v7, s44, v7
	s_and_not1_b32 s13, s13, exec_lo
	s_and_not1_b32 s12, s12, exec_lo
	v_add_nc_u32_e32 v9, s44, v9
	s_delay_alu instid0(VALU_DEP_1) | instskip(SKIP_2) | instid1(VALU_DEP_1)
	v_cmp_gt_i32_e32 vcc_lo, v9, v6
	v_lshrrev_b32_e32 v13, 31, v12
	s_and_b32 s15, vcc_lo, exec_lo
	v_add_lshl_u32 v12, v12, v13, 2
	s_or_b32 s13, s13, s15
	s_delay_alu instid0(VALU_DEP_1) | instskip(NEXT) | instid1(VALU_DEP_1)
	v_and_b32_e32 v12, -8, v12
	v_add_nc_u32_e32 v12, v8, v12
	v_add_nc_u32_e32 v8, s6, v8
	s_wait_loadcnt 0x0
	v_xor_b32_e32 v11, 0x80000000, v11
	ds_store_2addr_b32 v12, v10, v11 offset1:1
	s_branch .LBB2_43
.LBB2_46:                               ;   in Loop: Header=BB2_41 Depth=1
	s_or_b32 exec_lo, exec_lo, s10
	s_delay_alu instid0(SALU_CYCLE_1)
	s_or_not1_b32 s12, s11, exec_lo
.LBB2_47:                               ;   in Loop: Header=BB2_41 Depth=1
	s_or_b32 exec_lo, exec_lo, s9
	s_mov_b32 s9, -1
	s_mov_b32 s10, -1
	s_and_saveexec_b32 s11, s12
	s_cbranch_execz .LBB2_40
; %bb.48:                               ;   in Loop: Header=BB2_41 Depth=1
	v_dual_add_nc_u32 v6, s34, v6 :: v_dual_add_nc_u32 v4, s5, v4
	s_xor_b32 s10, exec_lo, -1
	s_delay_alu instid0(VALU_DEP_1)
	v_cmp_le_i32_e32 vcc_lo, s35, v6
	s_or_not1_b32 s9, vcc_lo, exec_lo
	s_branch .LBB2_40
.LBB2_49:
	s_or_b32 exec_lo, exec_lo, s7
	s_delay_alu instid0(SALU_CYCLE_1)
	s_mov_b32 s29, exec_lo
	s_or_not1_b32 s0, s8, exec_lo
.LBB2_50:
	s_or_b32 exec_lo, exec_lo, s4
.LBB2_51:
	s_and_saveexec_b32 s46, s0
	s_cbranch_execz .LBB2_106
; %bb.52:
	s_cmp_gt_i32 s35, 0
	s_mov_b32 s3, 0
	s_wait_storecnt_dscnt 0x0
	s_barrier_signal -1
	s_barrier_wait -1
	s_cbranch_scc0 .LBB2_94
; %bb.53:
	v_mad_u32_u24 v0, v43, s44, v42
	v_bfe_u32 v1, v41, 20, 10
	s_mul_i32 s6, s34, s44
	s_lshl_b32 s0, s35, 1
	v_lshl_add_u32 v5, v42, 3, 0
	s_or_b32 s8, s0, 1
	v_mad_u32 v4, s6, v1, v0
	v_dual_mov_b32 v7, 0 :: v_dual_lshlrev_b32 v0, 3, v43
	s_lshl_b32 s2, s28, 2
	s_lshl_b32 s9, s6, 3
	s_add_nc_u64 s[4:5], s[38:39], s[2:3]
	s_delay_alu instid0(VALU_DEP_1) | instskip(SKIP_3) | instid1(VALU_DEP_3)
	v_sub_nc_u32_e32 v6, 0, v0
	s_lshl_b32 s10, s44, 3
	s_lshl_b32 s11, s34, 3
	s_mov_b32 s13, 0
                                        ; implicit-def: $sgpr12
                                        ; implicit-def: $sgpr7
                                        ; implicit-def: $sgpr2
	v_cmp_eq_u32_e64 s0, 0, v4
	s_branch .LBB2_55
.LBB2_54:                               ;   in Loop: Header=BB2_55 Depth=1
	s_or_b32 exec_lo, exec_lo, s16
	s_xor_b32 s14, s28, -1
	s_xor_b32 s15, s19, -1
	s_xor_b32 s16, s18, -1
	s_and_b32 s1, exec_lo, s1
	s_delay_alu instid0(SALU_CYCLE_1)
	s_or_b32 s3, s1, s3
	s_and_not1_b32 s1, s2, exec_lo
	s_and_b32 s2, s14, exec_lo
	s_and_not1_b32 s12, s12, exec_lo
	s_or_b32 s2, s1, s2
	s_and_not1_b32 s1, s7, exec_lo
	s_and_b32 s7, s15, exec_lo
	s_and_b32 s14, s16, exec_lo
	s_or_b32 s7, s1, s7
	s_or_b32 s12, s12, s14
	s_and_not1_b32 exec_lo, exec_lo, s3
	s_cbranch_execz .LBB2_89
.LBB2_55:                               ; =>This Loop Header: Depth=1
                                        ;     Child Loop BB2_67 Depth 2
                                        ;     Child Loop BB2_77 Depth 2
                                        ;       Child Loop BB2_81 Depth 3
	s_sub_co_i32 s1, s8, s13
	s_mov_b32 s15, 0
	s_mul_i32 s1, s1, s13
	s_mov_b32 s18, -1
	s_lshr_b32 s14, s1, 31
	s_delay_alu instid0(SALU_CYCLE_1) | instskip(NEXT) | instid1(SALU_CYCLE_1)
	s_add_co_i32 s1, s1, s14
	s_ashr_i32 s28, s1, 1
	s_delay_alu instid0(SALU_CYCLE_1) | instskip(NEXT) | instid1(SALU_CYCLE_1)
	s_lshl_b32 s16, s28, 3
	s_add_co_i32 s17, s16, 0
	s_delay_alu instid0(SALU_CYCLE_1)
	v_mov_b32_e32 v0, s17
	ds_load_b32 v0, v0
	s_wait_dscnt 0x0
	v_cmp_class_f32_e64 s14, v0, 0x180
	v_readfirstlane_b32 s1, v0
	s_and_b32 vcc_lo, exec_lo, s14
	s_cbranch_vccnz .LBB2_60
; %bb.56:                               ;   in Loop: Header=BB2_55 Depth=1
	s_and_saveexec_b32 s15, s0
	s_cbranch_execz .LBB2_59
; %bb.57:                               ;   in Loop: Header=BB2_55 Depth=1
	global_load_b32 v0, v7, s[4:5]
	s_wait_loadcnt 0x0
	v_cmp_ne_u32_e32 vcc_lo, 0, v0
	v_mov_b32_e32 v0, s17
	ds_store_b32 v0, v7 offset:4
	s_cbranch_vccnz .LBB2_59
; %bb.58:                               ;   in Loop: Header=BB2_55 Depth=1
	s_add_co_i32 s18, s13, 1
	s_delay_alu instid0(SALU_CYCLE_1)
	v_mov_b32_e32 v0, s18
	global_store_b32 v7, v0, s[4:5]
.LBB2_59:                               ;   in Loop: Header=BB2_55 Depth=1
	s_wait_xcnt 0x0
	s_or_b32 exec_lo, exec_lo, s15
	s_mov_b32 s18, 0
	s_mov_b32 s15, -1
.LBB2_60:                               ;   in Loop: Header=BB2_55 Depth=1
	s_and_not1_b32 vcc_lo, exec_lo, s18
	s_cbranch_vccnz .LBB2_70
; %bb.61:                               ;   in Loop: Header=BB2_55 Depth=1
	s_mul_f32 s18, s1, 0x4f800000
	s_cmp_lt_f32 s1, 0xf800000
	s_delay_alu instid0(SALU_CYCLE_2) | instskip(NEXT) | instid1(SALU_CYCLE_1)
	s_cselect_b32 s18, s18, s1
	v_s_sqrt_f32 s19, s18
	s_mov_b32 s30, s18
	s_delay_alu instid0(TRANS32_DEP_1) | instskip(NEXT) | instid1(SALU_CYCLE_1)
	s_add_co_i32 s20, s19, -1
	s_xor_b32 s31, s20, 0x80000000
	s_delay_alu instid0(SALU_CYCLE_1) | instskip(SKIP_1) | instid1(SALU_CYCLE_2)
	s_fmac_f32 s30, s31, s19
	s_mov_b32 s31, s18
	s_cmp_le_f32 s30, 0
	s_cselect_b32 s20, s20, s19
	s_add_co_i32 s30, s19, 1
	s_delay_alu instid0(SALU_CYCLE_1) | instskip(NEXT) | instid1(SALU_CYCLE_1)
	s_xor_b32 s33, s30, 0x80000000
	s_fmac_f32 s31, s33, s19
	s_delay_alu instid0(SALU_CYCLE_3) | instskip(SKIP_4) | instid1(SALU_CYCLE_2)
	s_cmp_gt_f32 s31, 0
	s_cselect_b32 s19, s30, s20
	s_cmp_lt_f32 s1, 0xf800000
	s_mul_f32 s1, s19, 0x37800000
	v_cmp_class_f32_e64 s20, s18, 0x260
	s_cselect_b32 s1, s1, s19
	s_and_b32 s19, s20, exec_lo
	s_cselect_b32 s30, s18, s1
	s_and_saveexec_b32 s1, s0
; %bb.62:                               ;   in Loop: Header=BB2_55 Depth=1
	v_dual_mov_b32 v0, s17 :: v_dual_mov_b32 v1, s30
	ds_store_2addr_b32 v0, v1, v7 offset1:1
; %bb.63:                               ;   in Loop: Header=BB2_55 Depth=1
	s_or_b32 exec_lo, exec_lo, s1
	s_add_co_i32 s1, s13, 1
	s_mov_b32 s31, -1
	v_add_nc_u32_e32 v8, s1, v4
	s_mov_b32 s20, exec_lo
	s_wait_storecnt_dscnt 0x0
	s_barrier_signal -1
	s_barrier_wait -1
                                        ; implicit-def: $sgpr18
                                        ; implicit-def: $sgpr19
	v_cmpx_gt_i32_e64 s35, v8
	s_cbranch_execz .LBB2_72
; %bb.64:                               ;   in Loop: Header=BB2_55 Depth=1
	v_div_scale_f32 v0, null, s30, s30, 0
	v_div_scale_f32 v3, vcc_lo, 0, s30, 0
                                        ; implicit-def: $sgpr19
                                        ; implicit-def: $sgpr18
                                        ; implicit-def: $sgpr38
                                        ; implicit-def: $sgpr31
                                        ; implicit-def: $sgpr33
                                        ; implicit-def: $sgpr39
	s_delay_alu instid0(VALU_DEP_2)
	v_rcp_f32_e32 v1, v0
	v_nop
	v_xor_b32_e32 v0, 0x80000000, v0
	s_delay_alu instid0(TRANS32_DEP_1) | instid1(VALU_DEP_1)
	v_fma_f32 v2, v0, v1, 1.0
	s_delay_alu instid0(VALU_DEP_1) | instskip(NEXT) | instid1(VALU_DEP_1)
	v_fmac_f32_e32 v1, v2, v1
	v_mul_f32_e32 v2, v3, v1
	s_delay_alu instid0(VALU_DEP_1) | instskip(NEXT) | instid1(VALU_DEP_1)
	v_fma_f32 v9, v0, v2, v3
	v_fmac_f32_e32 v2, v9, v1
	s_delay_alu instid0(VALU_DEP_1) | instskip(NEXT) | instid1(VALU_DEP_1)
	v_fmac_f32_e32 v3, v0, v2
	v_div_fmas_f32 v0, v3, v1, v2
	s_delay_alu instid0(VALU_DEP_1) | instskip(NEXT) | instid1(VALU_DEP_1)
	v_div_fixup_f32 v0, v0, s30, 0
	v_fma_f32 v1, v0, 0, s30
                                        ; implicit-def: $sgpr30
	s_delay_alu instid0(VALU_DEP_1) | instskip(SKIP_1) | instid1(VALU_DEP_2)
	v_div_scale_f32 v2, null, v1, v1, 1.0
	v_div_scale_f32 v10, vcc_lo, 1.0, v1, 1.0
	v_rcp_f32_e32 v3, v2
	v_nop
	v_xor_b32_e32 v2, 0x80000000, v2
	s_delay_alu instid0(TRANS32_DEP_1) | instid1(VALU_DEP_1)
	v_fma_f32 v9, v2, v3, 1.0
	s_delay_alu instid0(VALU_DEP_1) | instskip(NEXT) | instid1(VALU_DEP_1)
	v_fmac_f32_e32 v3, v9, v3
	v_mul_f32_e32 v9, v10, v3
	s_delay_alu instid0(VALU_DEP_1) | instskip(NEXT) | instid1(VALU_DEP_1)
	v_fma_f32 v11, v2, v9, v10
	v_fmac_f32_e32 v9, v11, v3
	s_delay_alu instid0(VALU_DEP_1) | instskip(NEXT) | instid1(VALU_DEP_1)
	v_fmac_f32_e32 v10, v2, v9
	v_div_fmas_f32 v2, v10, v3, v9
	v_add_lshl_u32 v9, v4, s28, 3
	s_mov_b32 s28, 0
	s_delay_alu instid0(VALU_DEP_2) | instskip(SKIP_1) | instid1(VALU_DEP_3)
	v_div_fixup_f32 v2, v2, v1, 1.0
	v_mov_b32_e32 v1, v0
	v_add3_u32 v9, 0, 8, v9
	s_delay_alu instid0(VALU_DEP_3)
	v_mov_b32_e32 v3, v2
	s_branch .LBB2_67
.LBB2_65:                               ;   in Loop: Header=BB2_67 Depth=2
	s_or_b32 exec_lo, exec_lo, s49
	s_delay_alu instid0(SALU_CYCLE_1)
	s_and_not1_b32 s39, s39, exec_lo
	s_and_b32 s49, s50, exec_lo
	s_and_not1_b32 s38, s38, exec_lo
	s_and_b32 s48, s48, exec_lo
	s_or_b32 s39, s39, s49
	s_and_not1_b32 s33, s33, exec_lo
	s_or_b32 s31, s31, exec_lo
	s_or_b32 s38, s38, s48
.LBB2_66:                               ;   in Loop: Header=BB2_67 Depth=2
	s_or_b32 exec_lo, exec_lo, s41
	s_xor_b32 s41, s39, -1
	s_and_b32 s48, exec_lo, s38
	s_delay_alu instid0(SALU_CYCLE_1)
	s_or_b32 s28, s48, s28
	s_and_not1_b32 s18, s18, exec_lo
	s_and_b32 s48, s33, exec_lo
	s_and_not1_b32 s19, s19, exec_lo
	s_or_b32 s18, s18, s48
	s_and_b32 s48, s31, exec_lo
	s_and_not1_b32 s30, s30, exec_lo
	s_and_b32 s41, s41, exec_lo
	s_or_b32 s19, s19, s48
	s_or_b32 s30, s30, s41
	s_and_not1_b32 exec_lo, exec_lo, s28
	s_cbranch_execz .LBB2_71
.LBB2_67:                               ;   Parent Loop BB2_55 Depth=1
                                        ; =>  This Inner Loop Header: Depth=2
	s_or_b32 s39, s39, exec_lo
	s_or_b32 s33, s33, exec_lo
	s_and_not1_b32 s31, s31, exec_lo
	s_or_b32 s38, s38, exec_lo
	s_mov_b32 s41, exec_lo
	v_cmpx_lt_i32_e32 -1, v8
	s_cbranch_execz .LBB2_66
; %bb.68:                               ;   in Loop: Header=BB2_67 Depth=2
	s_mov_b32 s48, -1
	s_mov_b32 s50, -1
	s_mov_b32 s49, exec_lo
	v_cmpx_le_u32_e64 s13, v8
	s_cbranch_execz .LBB2_65
; %bb.69:                               ;   in Loop: Header=BB2_67 Depth=2
	ds_load_2addr_b32 v[10:11], v9 offset1:1
	s_xor_b32 s50, exec_lo, -1
	v_add_nc_u32_e32 v8, s6, v8
	s_delay_alu instid0(VALU_DEP_1) | instskip(SKIP_4) | instid1(VALU_DEP_2)
	v_cmp_le_i32_e32 vcc_lo, s35, v8
	s_or_not1_b32 s48, vcc_lo, exec_lo
	s_wait_dscnt 0x0
	v_pk_fma_f32 v[12:13], v[0:1], v[10:11], v[10:11] op_sel:[0,1,0] op_sel_hi:[1,0,1] neg_lo:[1,0,0] neg_hi:[1,0,0]
	v_pk_fma_f32 v[10:11], v[0:1], v[10:11], v[10:11] op_sel:[0,1,0] op_sel_hi:[1,0,1]
	v_mov_b32_e32 v11, v13
	s_delay_alu instid0(VALU_DEP_1)
	v_pk_mul_f32 v[10:11], v[2:3], v[10:11]
	ds_store_2addr_b32 v9, v10, v11 offset1:1
	v_add_nc_u32_e32 v9, s9, v9
	s_branch .LBB2_65
.LBB2_70:                               ;   in Loop: Header=BB2_55 Depth=1
                                        ; implicit-def: $sgpr18
                                        ; implicit-def: $sgpr19
                                        ; implicit-def: $sgpr28
	s_mov_b32 s1, -1
	s_and_saveexec_b32 s16, s15
	s_cbranch_execz .LBB2_54
	s_branch .LBB2_88
.LBB2_71:                               ;   in Loop: Header=BB2_55 Depth=1
	s_or_b32 exec_lo, exec_lo, s28
	s_delay_alu instid0(SALU_CYCLE_1)
	s_or_not1_b32 s31, s30, exec_lo
.LBB2_72:                               ;   in Loop: Header=BB2_55 Depth=1
	s_or_b32 exec_lo, exec_lo, s20
	s_mov_b32 s28, 0
	s_and_saveexec_b32 s20, s31
	s_delay_alu instid0(SALU_CYCLE_1)
	s_xor_b32 s20, exec_lo, s20
	s_cbranch_execz .LBB2_87
; %bb.73:                               ;   in Loop: Header=BB2_55 Depth=1
	v_add_nc_u32_e32 v8, s1, v43
	s_mov_b32 s30, -1
	s_mov_b32 s28, exec_lo
	s_wait_dscnt 0x0
	s_barrier_signal -1
	s_barrier_wait -1
	v_cmpx_gt_i32_e64 s35, v8
	s_cbranch_execz .LBB2_84
; %bb.74:                               ;   in Loop: Header=BB2_55 Depth=1
	v_dual_mov_b32 v10, v6 :: v_dual_add_nc_u32 v9, s1, v42
	s_mov_b32 s30, 0
                                        ; implicit-def: $sgpr31
                                        ; implicit-def: $sgpr38
                                        ; implicit-def: $sgpr33
	s_delay_alu instid0(VALU_DEP_1)
	v_cmp_gt_i32_e32 vcc_lo, s35, v9
	s_branch .LBB2_77
.LBB2_75:                               ;   in Loop: Header=BB2_77 Depth=2
	s_or_b32 exec_lo, exec_lo, s41
	v_add_nc_u32_e32 v8, s34, v8
	v_subrev_nc_u32_e32 v10, s11, v10
	s_and_not1_b32 s38, s38, exec_lo
	s_and_not1_b32 s33, s33, exec_lo
	s_delay_alu instid0(VALU_DEP_2) | instskip(SKIP_1) | instid1(SALU_CYCLE_1)
	v_cmp_le_i32_e64 s1, s35, v8
	s_and_b32 s1, s1, exec_lo
	s_or_b32 s38, s38, s1
.LBB2_76:                               ;   in Loop: Header=BB2_77 Depth=2
	s_or_b32 exec_lo, exec_lo, s39
	s_xor_b32 s1, s33, -1
	s_and_b32 s39, exec_lo, s38
	s_delay_alu instid0(SALU_CYCLE_1) | instskip(SKIP_2) | instid1(SALU_CYCLE_1)
	s_or_b32 s30, s39, s30
	s_and_not1_b32 s31, s31, exec_lo
	s_and_b32 s1, s1, exec_lo
	s_or_b32 s31, s31, s1
	s_and_not1_b32 exec_lo, exec_lo, s30
	s_cbranch_execz .LBB2_83
.LBB2_77:                               ;   Parent Loop BB2_55 Depth=1
                                        ; =>  This Loop Header: Depth=2
                                        ;       Child Loop BB2_81 Depth 3
	s_or_b32 s33, s33, exec_lo
	s_or_b32 s38, s38, exec_lo
	s_mov_b32 s39, exec_lo
	v_cmpx_lt_i32_e32 -1, v8
	s_cbranch_execz .LBB2_76
; %bb.78:                               ;   in Loop: Header=BB2_77 Depth=2
	s_and_saveexec_b32 s41, vcc_lo
	s_cbranch_execz .LBB2_75
; %bb.79:                               ;   in Loop: Header=BB2_77 Depth=2
	v_sub_nc_u32_e32 v1, s8, v8
	v_subrev_nc_u32_e32 v0, s13, v8
	s_mov_b32 s48, 0
	v_dual_mov_b32 v11, v5 :: v_dual_mov_b32 v13, v9
	s_delay_alu instid0(VALU_DEP_3) | instskip(NEXT) | instid1(VALU_DEP_3)
	v_mul_lo_u32 v2, v1, v8
	v_lshl_add_u32 v0, v0, 3, s17
	ds_load_2addr_b32 v[0:1], v0 offset1:1
	v_lshrrev_b32_e32 v3, 31, v2
	s_delay_alu instid0(VALU_DEP_1) | instskip(SKIP_1) | instid1(VALU_DEP_1)
	v_add_lshl_u32 v2, v2, v3, 2
	s_wait_dscnt 0x0
	v_dual_mov_b32 v2, v1 :: v_dual_bitop2_b32 v12, -8, v2 bitop3:0x40
	s_delay_alu instid0(VALU_DEP_1)
	v_dual_mov_b32 v3, v0 :: v_dual_add_nc_u32 v12, v10, v12
	s_branch .LBB2_81
.LBB2_80:                               ;   in Loop: Header=BB2_81 Depth=3
	s_or_b32 exec_lo, exec_lo, s49
	v_dual_add_nc_u32 v13, s44, v13 :: v_dual_add_nc_u32 v11, s10, v11
	s_delay_alu instid0(VALU_DEP_1) | instskip(SKIP_1) | instid1(SALU_CYCLE_1)
	v_cmp_le_i32_e64 s1, s35, v13
	s_or_b32 s48, s1, s48
	s_and_not1_b32 exec_lo, exec_lo, s48
	s_cbranch_execz .LBB2_75
.LBB2_81:                               ;   Parent Loop BB2_55 Depth=1
                                        ;     Parent Loop BB2_77 Depth=2
                                        ; =>    This Inner Loop Header: Depth=3
	s_mov_b32 s49, exec_lo
	v_cmpx_ge_i32_e64 v13, v8
	s_cbranch_execz .LBB2_80
; %bb.82:                               ;   in Loop: Header=BB2_81 Depth=3
	v_dual_add_nc_u32 v14, s16, v11 :: v_dual_add_nc_u32 v21, v11, v12
	ds_load_2addr_b32 v[14:15], v14 offset0:2 offset1:3
	ds_load_2addr_b32 v[16:17], v21 offset1:1
	s_wait_dscnt 0x1
	v_pk_mul_f32 v[18:19], v[0:1], v[14:15] op_sel_hi:[1,0]
	v_mov_b32_e32 v20, v15
	s_delay_alu instid0(VALU_DEP_2) | instskip(NEXT) | instid1(VALU_DEP_2)
	v_pk_fma_f32 v[14:15], v[2:3], v[14:15], v[18:19] op_sel:[0,1,0] neg_lo:[0,0,1] neg_hi:[0,0,1]
	v_pk_fma_f32 v[18:19], v[2:3], v[20:21], v[18:19]
	s_delay_alu instid0(VALU_DEP_2) | instskip(SKIP_1) | instid1(VALU_DEP_1)
	v_mov_b32_e32 v19, v15
	s_wait_dscnt 0x0
	v_pk_add_f32 v[14:15], v[16:17], v[18:19] neg_lo:[0,1] neg_hi:[0,1]
	ds_store_2addr_b32 v21, v14, v15 offset1:1
	s_branch .LBB2_80
.LBB2_83:                               ;   in Loop: Header=BB2_55 Depth=1
	s_or_b32 exec_lo, exec_lo, s30
	s_delay_alu instid0(SALU_CYCLE_1)
	s_or_not1_b32 s30, s31, exec_lo
.LBB2_84:                               ;   in Loop: Header=BB2_55 Depth=1
	s_or_b32 exec_lo, exec_lo, s28
	s_mov_b32 s1, s15
	s_and_saveexec_b32 s16, s30
	s_cbranch_execz .LBB2_86
; %bb.85:                               ;   in Loop: Header=BB2_55 Depth=1
	s_or_b32 s1, s15, exec_lo
	s_wait_dscnt 0x0
	s_barrier_signal -1
	s_barrier_wait -1
.LBB2_86:                               ;   in Loop: Header=BB2_55 Depth=1
	s_or_b32 exec_lo, exec_lo, s16
	s_delay_alu instid0(SALU_CYCLE_1)
	s_and_not1_b32 s15, s15, exec_lo
	s_and_b32 s1, s1, exec_lo
	s_mov_b32 s28, exec_lo
	s_and_not1_b32 s19, s19, exec_lo
	s_and_not1_b32 s18, s18, exec_lo
	s_or_b32 s15, s15, s1
.LBB2_87:                               ;   in Loop: Header=BB2_55 Depth=1
	s_or_b32 exec_lo, exec_lo, s20
	s_mov_b32 s1, -1
	s_and_saveexec_b32 s16, s15
	s_cbranch_execz .LBB2_54
.LBB2_88:                               ;   in Loop: Header=BB2_55 Depth=1
	s_add_co_i32 s13, s13, 1
	s_delay_alu instid0(SALU_CYCLE_1)
	s_cmp_eq_u32 s13, s35
	s_cselect_b32 s1, -1, 0
	s_xor_b32 s14, s14, -1
	s_and_not1_b32 s28, s28, exec_lo
	s_or_b32 s1, s14, s1
	s_and_not1_b32 s19, s19, exec_lo
	s_and_not1_b32 s18, s18, exec_lo
	s_or_not1_b32 s1, s1, exec_lo
	s_branch .LBB2_54
.LBB2_89:
	s_or_b32 exec_lo, exec_lo, s3
	s_mov_b32 s1, 0
	s_mov_b32 s28, -1
	s_mov_b32 s39, 0
	s_mov_b32 s38, 0
	s_and_saveexec_b32 s0, s12
	s_cbranch_execz .LBB2_93
; %bb.90:
	s_mov_b32 s4, -1
	s_mov_b32 s3, 0
	s_and_saveexec_b32 s5, s7
	s_delay_alu instid0(SALU_CYCLE_1)
	s_xor_b32 s5, exec_lo, s5
; %bb.91:
	s_mov_b32 s3, exec_lo
	s_xor_b32 s4, exec_lo, -1
	s_and_b32 s1, s2, exec_lo
; %bb.92:
	s_or_b32 exec_lo, exec_lo, s5
	s_delay_alu instid0(SALU_CYCLE_1)
	s_xor_b32 s28, exec_lo, -1
	s_and_b32 s38, s4, exec_lo
	s_and_b32 s39, s3, exec_lo
	;; [unrolled: 1-line block ×3, first 2 shown]
.LBB2_93:
	s_or_b32 exec_lo, exec_lo, s0
	s_mov_b32 s41, s45
	s_and_saveexec_b32 s48, s1
	s_cbranch_execnz .LBB2_95
	s_branch .LBB2_101
.LBB2_94:
	s_mov_b32 s1, -1
	s_mov_b32 s39, 0
	s_mov_b32 s38, 0
	;; [unrolled: 1-line block ×4, first 2 shown]
	s_and_saveexec_b32 s48, s1
	s_cbranch_execz .LBB2_101
.LBB2_95:
	s_mov_b32 s1, -1
	s_mov_b32 s49, 0
	s_and_b32 vcc_lo, exec_lo, s47
	s_mov_b32 s0, 0
	s_mov_b32 s50, s45
	s_wait_storecnt_dscnt 0x0
	s_barrier_signal -1
	s_barrier_wait -1
	s_cbranch_vccnz .LBB2_119
; %bb.96:
	s_and_b32 vcc_lo, exec_lo, s1
	s_cbranch_vccnz .LBB2_146
.LBB2_97:
	s_and_saveexec_b32 s1, s0
	s_cbranch_execnz .LBB2_159
.LBB2_98:
	s_or_b32 exec_lo, exec_lo, s1
	s_and_saveexec_b32 s0, s49
	s_delay_alu instid0(SALU_CYCLE_1)
	s_xor_b32 s21, exec_lo, s0
	s_cbranch_execz .LBB2_100
.LBB2_99:
	s_get_pc_i64 s[0:1]
	s_add_nc_u64 s[0:1], s[0:1], .str.9@rel64+4
	s_get_pc_i64 s[2:3]
	s_add_nc_u64 s[2:3], s[2:3], __PRETTY_FUNCTION__._ZN9rocsolver6v33100L9idx_lowerIiEET_S2_S2_S2_@rel64+4
	v_dual_mov_b32 v0, s0 :: v_dual_mov_b32 v1, s1
	v_dual_mov_b32 v2, 0x50 :: v_dual_mov_b32 v3, s2
	v_mov_b32_e32 v4, s3
	s_add_nc_u64 s[8:9], s[22:23], 48
	s_get_pc_i64 s[4:5]
	s_add_nc_u64 s[4:5], s[4:5], __assert_fail@rel64+4
	s_delay_alu instid0(SALU_CYCLE_1)
	s_swap_pc_i64 s[30:31], s[4:5]
	s_or_b32 s50, s50, exec_lo
.LBB2_100:
	s_or_b32 exec_lo, exec_lo, s21
	s_delay_alu instid0(SALU_CYCLE_1)
	s_and_not1_b32 s0, s45, exec_lo
	s_and_b32 s1, s50, exec_lo
	s_and_not1_b32 s39, s39, exec_lo
	s_or_b32 s41, s0, s1
.LBB2_101:
	s_or_b32 exec_lo, exec_lo, s48
	s_and_saveexec_b32 s0, s39
	s_delay_alu instid0(SALU_CYCLE_1)
	s_xor_b32 s21, exec_lo, s0
	s_cbranch_execnz .LBB2_117
; %bb.102:
	s_or_b32 exec_lo, exec_lo, s21
	s_and_saveexec_b32 s0, s38
	s_delay_alu instid0(SALU_CYCLE_1)
	s_xor_b32 s21, exec_lo, s0
	s_cbranch_execnz .LBB2_118
.LBB2_103:
	s_or_b32 exec_lo, exec_lo, s21
	s_and_saveexec_b32 s0, s28
	s_delay_alu instid0(SALU_CYCLE_1)
	s_xor_b32 s21, exec_lo, s0
	s_cbranch_execz .LBB2_105
.LBB2_104:
	s_get_pc_i64 s[0:1]
	s_add_nc_u64 s[0:1], s[0:1], .str.8@rel64+4
	s_get_pc_i64 s[2:3]
	s_add_nc_u64 s[2:3], s[2:3], __PRETTY_FUNCTION__._ZN9rocsolver6v33100L9idx_lowerIiEET_S2_S2_S2_@rel64+4
	v_dual_mov_b32 v0, s0 :: v_dual_mov_b32 v1, s1
	v_dual_mov_b32 v2, 0x4f :: v_dual_mov_b32 v3, s2
	v_mov_b32_e32 v4, s3
	s_add_nc_u64 s[8:9], s[22:23], 48
	s_get_pc_i64 s[4:5]
	s_add_nc_u64 s[4:5], s[4:5], __assert_fail@rel64+4
	s_delay_alu instid0(SALU_CYCLE_1)
	s_swap_pc_i64 s[30:31], s[4:5]
	s_or_b32 s41, s41, exec_lo
.LBB2_105:
	s_or_b32 exec_lo, exec_lo, s21
	s_delay_alu instid0(SALU_CYCLE_1)
	s_and_not1_b32 s0, s45, exec_lo
	s_and_b32 s1, s41, exec_lo
	s_and_not1_b32 s29, s29, exec_lo
	s_or_b32 s45, s0, s1
.LBB2_106:
	s_or_b32 exec_lo, exec_lo, s46
	s_and_saveexec_b32 s0, s29
	s_delay_alu instid0(SALU_CYCLE_1)
	s_xor_b32 s21, exec_lo, s0
	s_cbranch_execz .LBB2_108
; %bb.107:
	s_get_pc_i64 s[0:1]
	s_add_nc_u64 s[0:1], s[0:1], .str.9@rel64+4
	s_get_pc_i64 s[2:3]
	s_add_nc_u64 s[2:3], s[2:3], __PRETTY_FUNCTION__._ZN9rocsolver6v33100L9idx_lowerIiEET_S2_S2_S2_@rel64+4
	v_dual_mov_b32 v0, s0 :: v_dual_mov_b32 v1, s1
	v_dual_mov_b32 v2, 0x50 :: v_dual_mov_b32 v3, s2
	v_mov_b32_e32 v4, s3
	s_add_nc_u64 s[8:9], s[22:23], 48
	s_get_pc_i64 s[4:5]
	s_add_nc_u64 s[4:5], s[4:5], __assert_fail@rel64+4
	s_delay_alu instid0(SALU_CYCLE_1)
	s_swap_pc_i64 s[30:31], s[4:5]
	s_or_b32 s45, s45, exec_lo
.LBB2_108:
	s_or_b32 exec_lo, exec_lo, s21
	s_branch .LBB2_110
.LBB2_109:
	s_get_pc_i64 s[0:1]
	s_add_nc_u64 s[0:1], s[0:1], .str.4@rel64+4
	s_get_pc_i64 s[2:3]
	s_add_nc_u64 s[2:3], s[2:3], __PRETTY_FUNCTION__._ZN9rocsolver6v33100L18potf2_kernel_smallI19rocblas_complex_numIfEiiPS3_EEvbT0_T2_lS5_lPT1_@rel64+4
	v_dual_mov_b32 v0, s0 :: v_dual_mov_b32 v1, s1
	v_dual_mov_b32 v2, 0x131 :: v_dual_mov_b32 v3, s2
	v_mov_b32_e32 v4, s3
	s_add_nc_u64 s[8:9], s[22:23], 48
	s_get_pc_i64 s[4:5]
	s_add_nc_u64 s[4:5], s[4:5], __assert_fail@rel64+4
	s_delay_alu instid0(SALU_CYCLE_1)
	s_swap_pc_i64 s[30:31], s[4:5]
	s_or_b32 s45, s45, exec_lo
.LBB2_110:
	s_branch .LBB2_112
.LBB2_111:
	s_get_pc_i64 s[0:1]
	s_add_nc_u64 s[0:1], s[0:1], .str.3@rel64+4
	s_get_pc_i64 s[2:3]
	s_add_nc_u64 s[2:3], s[2:3], __PRETTY_FUNCTION__._ZN9rocsolver6v33100L18potf2_kernel_smallI19rocblas_complex_numIfEiiPS3_EEvbT0_T2_lS5_lPT1_@rel64+4
	v_dual_mov_b32 v0, s0 :: v_dual_mov_b32 v1, s1
	v_dual_mov_b32 v2, 0x12c :: v_dual_mov_b32 v3, s2
	v_mov_b32_e32 v4, s3
	s_add_nc_u64 s[8:9], s[22:23], 48
	s_get_pc_i64 s[4:5]
	s_add_nc_u64 s[4:5], s[4:5], __assert_fail@rel64+4
	s_delay_alu instid0(SALU_CYCLE_1)
	s_swap_pc_i64 s[30:31], s[4:5]
	s_or_b32 s45, s45, exec_lo
.LBB2_112:
	s_branch .LBB2_114
.LBB2_113:
	s_get_pc_i64 s[0:1]
	s_add_nc_u64 s[0:1], s[0:1], .str.2@rel64+4
	s_get_pc_i64 s[2:3]
	s_add_nc_u64 s[2:3], s[2:3], __PRETTY_FUNCTION__._ZN9rocsolver6v33100L18potf2_kernel_smallI19rocblas_complex_numIfEiiPS3_EEvbT0_T2_lS5_lPT1_@rel64+4
	v_dual_mov_b32 v0, s0 :: v_dual_mov_b32 v1, s1
	v_dual_mov_b32 v2, 0x12b :: v_dual_mov_b32 v3, s2
	v_mov_b32_e32 v4, s3
	s_add_nc_u64 s[8:9], s[22:23], 48
	s_get_pc_i64 s[4:5]
	s_add_nc_u64 s[4:5], s[4:5], __assert_fail@rel64+4
	s_delay_alu instid0(SALU_CYCLE_1)
	s_swap_pc_i64 s[30:31], s[4:5]
	s_or_b32 s45, s45, exec_lo
.LBB2_114:
	s_delay_alu instid0(SALU_CYCLE_1)
	s_and_saveexec_b32 s0, s45
; %bb.115:
	; divergent unreachable
; %bb.116:
	s_endpgm
.LBB2_117:
	s_get_pc_i64 s[0:1]
	s_add_nc_u64 s[0:1], s[0:1], .str.8@rel64+4
	s_get_pc_i64 s[2:3]
	s_add_nc_u64 s[2:3], s[2:3], __PRETTY_FUNCTION__._ZN9rocsolver6v33100L9idx_lowerIiEET_S2_S2_S2_@rel64+4
	v_dual_mov_b32 v0, s0 :: v_dual_mov_b32 v1, s1
	v_dual_mov_b32 v2, 0x4f :: v_dual_mov_b32 v3, s2
	v_mov_b32_e32 v4, s3
	s_add_nc_u64 s[8:9], s[22:23], 48
	s_get_pc_i64 s[4:5]
	s_add_nc_u64 s[4:5], s[4:5], __assert_fail@rel64+4
	s_delay_alu instid0(SALU_CYCLE_1) | instskip(SKIP_3) | instid1(SALU_CYCLE_1)
	s_swap_pc_i64 s[30:31], s[4:5]
	s_or_b32 s41, s41, exec_lo
	s_or_b32 exec_lo, exec_lo, s21
	s_and_saveexec_b32 s0, s38
	s_xor_b32 s21, exec_lo, s0
	s_cbranch_execz .LBB2_103
.LBB2_118:
	s_get_pc_i64 s[0:1]
	s_add_nc_u64 s[0:1], s[0:1], .str.10@rel64+4
	s_get_pc_i64 s[2:3]
	s_add_nc_u64 s[2:3], s[2:3], __PRETTY_FUNCTION__._ZN9rocsolver6v33100L9idx_lowerIiEET_S2_S2_S2_@rel64+4
	v_dual_mov_b32 v0, s0 :: v_dual_mov_b32 v1, s1
	v_dual_mov_b32 v2, 0x51 :: v_dual_mov_b32 v3, s2
	v_mov_b32_e32 v4, s3
	s_add_nc_u64 s[8:9], s[22:23], 48
	s_get_pc_i64 s[4:5]
	s_add_nc_u64 s[4:5], s[4:5], __assert_fail@rel64+4
	s_delay_alu instid0(SALU_CYCLE_1) | instskip(SKIP_3) | instid1(SALU_CYCLE_1)
	s_swap_pc_i64 s[30:31], s[4:5]
	s_or_b32 s41, s41, exec_lo
	s_or_b32 exec_lo, exec_lo, s21
	s_and_saveexec_b32 s0, s28
	s_xor_b32 s21, exec_lo, s0
	s_cbranch_execnz .LBB2_104
	s_branch .LBB2_105
.LBB2_119:
	s_mov_b32 s0, -1
	s_mov_b32 s50, s45
	s_and_saveexec_b32 s47, s21
	s_cbranch_execz .LBB2_145
; %bb.120:
	v_dual_add_nc_u32 v6, v43, v42 :: v_dual_mov_b32 v0, v43
	v_lshl_add_u32 v7, v42, 3, 0
	s_lshl_b32 s0, s35, 1
	s_ashr_i32 s41, s40, 31
	s_or_b32 s6, s0, 1
	s_mov_b32 s4, 0
	s_lshl_b32 s7, s44, 3
                                        ; implicit-def: $sgpr5
                                        ; implicit-def: $sgpr3
                                        ; implicit-def: $sgpr2
                                        ; implicit-def: $sgpr8
	s_branch .LBB2_122
.LBB2_121:                              ;   in Loop: Header=BB2_122 Depth=1
	s_or_b32 exec_lo, exec_lo, s11
	s_xor_b32 s0, s9, -1
	s_xor_b32 s9, s10, -1
	s_and_b32 s1, exec_lo, s1
	s_delay_alu instid0(SALU_CYCLE_1)
	s_or_b32 s4, s1, s4
	s_and_not1_b32 s1, s2, exec_lo
	s_and_b32 s2, s8, exec_lo
	s_and_b32 s0, s0, exec_lo
	s_or_b32 s2, s1, s2
	s_and_not1_b32 s1, s3, exec_lo
	s_and_not1_b32 s5, s5, exec_lo
	s_and_b32 s9, s9, exec_lo
	s_or_b32 s3, s1, s0
	s_or_b32 s5, s5, s9
	s_and_not1_b32 exec_lo, exec_lo, s4
	s_cbranch_execz .LBB2_134
.LBB2_122:                              ; =>This Loop Header: Depth=1
                                        ;     Child Loop BB2_127 Depth 2
	v_add_nc_u32_e32 v2, v0, v42
	s_mov_b32 s0, -1
	s_mov_b32 s11, exec_lo
                                        ; implicit-def: $sgpr10
                                        ; implicit-def: $sgpr9
                                        ; implicit-def: $sgpr12
	s_delay_alu instid0(VALU_DEP_1)
	v_cmpx_gt_i32_e64 s35, v2
	s_cbranch_execz .LBB2_132
; %bb.123:                              ;   in Loop: Header=BB2_122 Depth=1
	v_ashrrev_i32_e32 v1, 31, v0
	v_cmp_ge_u32_e64 s0, v6, v0
	s_mov_b32 s13, 0
	v_cmp_lt_i32_e32 vcc_lo, -1, v0
                                        ; implicit-def: $sgpr14
                                        ; implicit-def: $sgpr12
                                        ; implicit-def: $sgpr9
                                        ; implicit-def: $sgpr10
                                        ; implicit-def: $sgpr16
                                        ; implicit-def: $sgpr19
                                        ; implicit-def: $sgpr17
                                        ; implicit-def: $sgpr15
                                        ; implicit-def: $sgpr18
	v_mul_u64_e32 v[4:5], s[40:41], v[0:1]
	v_sub_nc_u32_e32 v1, s6, v0
	s_delay_alu instid0(VALU_DEP_1) | instskip(NEXT) | instid1(VALU_DEP_1)
	v_mul_lo_u32 v1, v1, v0
	v_lshrrev_b32_e32 v3, 31, v1
	s_delay_alu instid0(VALU_DEP_1) | instskip(NEXT) | instid1(VALU_DEP_1)
	v_add_lshl_u32 v1, v1, v3, 2
	v_and_b32_e32 v1, -8, v1
	s_delay_alu instid0(VALU_DEP_1)
	v_add_nc_u32_e32 v1, v7, v1
	v_lshl_add_u64 v[4:5], v[4:5], 3, s[42:43]
	s_branch .LBB2_127
.LBB2_124:                              ;   in Loop: Header=BB2_127 Depth=2
	s_wait_xcnt 0x0
	s_or_b32 exec_lo, exec_lo, s31
	s_delay_alu instid0(SALU_CYCLE_1)
	s_mov_b32 s1, exec_lo
	s_or_not1_b32 s50, s33, exec_lo
	s_xor_b32 s33, exec_lo, -1
	s_or_not1_b32 s31, s51, exec_lo
.LBB2_125:                              ;   in Loop: Header=BB2_127 Depth=2
	s_or_b32 exec_lo, exec_lo, s30
	s_delay_alu instid0(SALU_CYCLE_1)
	s_and_not1_b32 s18, s18, exec_lo
	s_and_b32 s30, s50, exec_lo
	s_and_not1_b32 s17, s17, exec_lo
	s_or_b32 s18, s18, s30
	s_and_b32 s30, s33, exec_lo
	s_and_not1_b32 s19, s19, exec_lo
	s_or_b32 s17, s17, s30
	s_and_b32 s1, s1, exec_lo
	s_and_not1_b32 s16, s16, exec_lo
	s_and_b32 s30, s31, exec_lo
	s_and_not1_b32 s15, s15, exec_lo
	s_or_b32 s19, s19, s1
	s_or_b32 s16, s16, s30
.LBB2_126:                              ;   in Loop: Header=BB2_127 Depth=2
	s_or_b32 exec_lo, exec_lo, s20
	s_xor_b32 s1, s18, -1
	s_and_b32 s20, exec_lo, s16
	s_delay_alu instid0(SALU_CYCLE_1)
	s_or_b32 s13, s20, s13
	s_and_not1_b32 s10, s10, exec_lo
	s_and_b32 s20, s15, exec_lo
	s_and_not1_b32 s9, s9, exec_lo
	s_and_b32 s30, s17, exec_lo
	s_or_b32 s10, s10, s20
	s_and_not1_b32 s12, s12, exec_lo
	s_and_b32 s20, s19, exec_lo
	s_and_not1_b32 s14, s14, exec_lo
	s_and_b32 s1, s1, exec_lo
	s_or_b32 s9, s9, s30
	s_or_b32 s12, s12, s20
	;; [unrolled: 1-line block ×3, first 2 shown]
	s_and_not1_b32 exec_lo, exec_lo, s13
	s_cbranch_execz .LBB2_131
.LBB2_127:                              ;   Parent Loop BB2_122 Depth=1
                                        ; =>  This Inner Loop Header: Depth=2
	s_or_b32 s18, s18, exec_lo
	s_or_b32 s15, s15, exec_lo
	s_and_not1_b32 s17, s17, exec_lo
	s_and_not1_b32 s19, s19, exec_lo
	s_or_b32 s16, s16, exec_lo
	s_mov_b32 s20, exec_lo
	v_cmpx_lt_i32_e32 -1, v2
	s_cbranch_execz .LBB2_126
; %bb.128:                              ;   in Loop: Header=BB2_127 Depth=2
	s_mov_b32 s1, 0
	s_mov_b32 s31, -1
	s_mov_b32 s33, -1
	;; [unrolled: 1-line block ×3, first 2 shown]
	s_and_saveexec_b32 s30, vcc_lo
	s_cbranch_execz .LBB2_125
; %bb.129:                              ;   in Loop: Header=BB2_127 Depth=2
	s_mov_b32 s51, -1
	s_and_saveexec_b32 s31, s0
	s_cbranch_execz .LBB2_124
; %bb.130:                              ;   in Loop: Header=BB2_127 Depth=2
	ds_load_2addr_b32 v[8:9], v1 offset1:1
	v_dual_ashrrev_i32 v3, 31, v2 :: v_dual_add_nc_u32 v1, s7, v1
	s_xor_b32 s33, exec_lo, -1
	s_delay_alu instid0(VALU_DEP_1) | instskip(SKIP_1) | instid1(VALU_DEP_1)
	v_lshl_add_u64 v[10:11], v[2:3], 3, v[4:5]
	v_add_nc_u32_e32 v2, s44, v2
	v_cmp_le_i32_e64 s1, s35, v2
	s_or_not1_b32 s51, s1, exec_lo
	s_wait_dscnt 0x0
	global_store_b64 v[10:11], v[8:9], off
	s_branch .LBB2_124
.LBB2_131:                              ;   in Loop: Header=BB2_122 Depth=1
	s_or_b32 exec_lo, exec_lo, s13
	s_delay_alu instid0(SALU_CYCLE_1)
	s_or_not1_b32 s0, s14, exec_lo
.LBB2_132:                              ;   in Loop: Header=BB2_122 Depth=1
	s_or_b32 exec_lo, exec_lo, s11
	s_delay_alu instid0(SALU_CYCLE_1)
	s_and_not1_b32 s8, s8, exec_lo
	s_and_b32 s11, s12, exec_lo
	s_mov_b32 s1, -1
	s_or_b32 s8, s8, s11
	s_and_saveexec_b32 s11, s0
	s_cbranch_execz .LBB2_121
; %bb.133:                              ;   in Loop: Header=BB2_122 Depth=1
	v_dual_add_nc_u32 v0, s34, v0 :: v_dual_add_nc_u32 v6, s34, v6
	s_and_not1_b32 s8, s8, exec_lo
	s_and_not1_b32 s9, s9, exec_lo
	;; [unrolled: 1-line block ×3, first 2 shown]
	s_delay_alu instid0(VALU_DEP_1)
	v_cmp_le_i32_e32 vcc_lo, s35, v0
	s_or_not1_b32 s1, vcc_lo, exec_lo
	s_branch .LBB2_121
.LBB2_134:
	s_or_b32 exec_lo, exec_lo, s4
	s_mov_b32 s42, 0
	s_mov_b32 s50, s45
	s_and_saveexec_b32 s0, s5
	s_delay_alu instid0(SALU_CYCLE_1)
	s_xor_b32 s41, exec_lo, s0
	s_cbranch_execz .LBB2_142
; %bb.135:
	s_mov_b32 s43, 0
	s_mov_b32 s50, s45
	s_and_saveexec_b32 s0, s3
	s_delay_alu instid0(SALU_CYCLE_1)
	s_xor_b32 s42, exec_lo, s0
	s_cbranch_execz .LBB2_139
; %bb.136:
	s_mov_b32 s0, -1
	s_mov_b32 s1, s45
	s_and_saveexec_b32 s3, s2
	s_delay_alu instid0(SALU_CYCLE_1)
	s_xor_b32 s43, exec_lo, s3
	s_cbranch_execz .LBB2_138
; %bb.137:
	s_get_pc_i64 s[0:1]
	s_add_nc_u64 s[0:1], s[0:1], .str.10@rel64+4
	s_get_pc_i64 s[2:3]
	s_add_nc_u64 s[2:3], s[2:3], __PRETTY_FUNCTION__._ZN9rocsolver6v33100L9idx_lowerIiEET_S2_S2_S2_@rel64+4
	v_dual_mov_b32 v0, s0 :: v_dual_mov_b32 v1, s1
	v_dual_mov_b32 v2, 0x51 :: v_dual_mov_b32 v3, s2
	v_mov_b32_e32 v4, s3
	s_add_nc_u64 s[8:9], s[22:23], 48
	s_get_pc_i64 s[4:5]
	s_add_nc_u64 s[4:5], s[4:5], __assert_fail@rel64+4
	s_delay_alu instid0(SALU_CYCLE_1)
	s_swap_pc_i64 s[30:31], s[4:5]
	s_or_b32 s1, s45, exec_lo
	s_xor_b32 s0, exec_lo, -1
.LBB2_138:
	s_or_b32 exec_lo, exec_lo, s43
	s_delay_alu instid0(SALU_CYCLE_1)
	s_and_not1_b32 s2, s45, exec_lo
	s_and_b32 s1, s1, exec_lo
	s_and_b32 s43, s0, exec_lo
	s_or_b32 s50, s2, s1
.LBB2_139:
	s_and_not1_saveexec_b32 s42, s42
	s_cbranch_execz .LBB2_141
; %bb.140:
	s_get_pc_i64 s[0:1]
	s_add_nc_u64 s[0:1], s[0:1], .str.9@rel64+4
	s_get_pc_i64 s[2:3]
	s_add_nc_u64 s[2:3], s[2:3], __PRETTY_FUNCTION__._ZN9rocsolver6v33100L9idx_lowerIiEET_S2_S2_S2_@rel64+4
	v_dual_mov_b32 v0, s0 :: v_dual_mov_b32 v1, s1
	v_dual_mov_b32 v2, 0x50 :: v_dual_mov_b32 v3, s2
	v_mov_b32_e32 v4, s3
	s_add_nc_u64 s[8:9], s[22:23], 48
	s_get_pc_i64 s[4:5]
	s_add_nc_u64 s[4:5], s[4:5], __assert_fail@rel64+4
	s_delay_alu instid0(SALU_CYCLE_1)
	s_swap_pc_i64 s[30:31], s[4:5]
	s_or_b32 s50, s50, exec_lo
.LBB2_141:
	s_or_b32 exec_lo, exec_lo, s42
	s_delay_alu instid0(SALU_CYCLE_1)
	s_and_not1_b32 s0, s45, exec_lo
	s_and_b32 s1, s50, exec_lo
	s_and_b32 s42, s43, exec_lo
	s_or_b32 s50, s0, s1
.LBB2_142:
	s_and_not1_saveexec_b32 s41, s41
	s_cbranch_execz .LBB2_144
; %bb.143:
	s_get_pc_i64 s[0:1]
	s_add_nc_u64 s[0:1], s[0:1], .str.8@rel64+4
	s_get_pc_i64 s[2:3]
	s_add_nc_u64 s[2:3], s[2:3], __PRETTY_FUNCTION__._ZN9rocsolver6v33100L9idx_lowerIiEET_S2_S2_S2_@rel64+4
	v_dual_mov_b32 v0, s0 :: v_dual_mov_b32 v1, s1
	v_dual_mov_b32 v2, 0x4f :: v_dual_mov_b32 v3, s2
	v_mov_b32_e32 v4, s3
	s_add_nc_u64 s[8:9], s[22:23], 48
	s_get_pc_i64 s[4:5]
	s_add_nc_u64 s[4:5], s[4:5], __assert_fail@rel64+4
	s_delay_alu instid0(SALU_CYCLE_1)
	s_swap_pc_i64 s[30:31], s[4:5]
	s_or_b32 s50, s50, exec_lo
.LBB2_144:
	s_or_b32 exec_lo, exec_lo, s41
	s_delay_alu instid0(SALU_CYCLE_1) | instskip(SKIP_1) | instid1(SALU_CYCLE_1)
	s_and_not1_b32 s0, s45, exec_lo
	s_and_b32 s1, s50, exec_lo
	s_or_b32 s50, s0, s1
	s_or_not1_b32 s0, s42, exec_lo
.LBB2_145:
	s_or_b32 exec_lo, exec_lo, s47
	s_branch .LBB2_97
.LBB2_146:
	s_mov_b32 s0, -1
	s_mov_b32 s49, 0
	s_and_saveexec_b32 s4, s21
	s_cbranch_execz .LBB2_158
; %bb.147:
	v_dual_lshlrev_b32 v2, 3, v43 :: v_dual_lshlrev_b32 v0, 3, v42
	v_mov_b32_e32 v1, 0
	s_add_nc_u64 s[0:1], s[36:37], s[26:27]
	s_ashr_i32 s41, s40, 31
	s_add_nc_u64 s[0:1], s[24:25], s[0:1]
	v_sub_nc_u32_e32 v2, v2, v0
	v_add_nc_u64_e32 v[0:1], s[0:1], v[0:1]
	s_lshl_b32 s0, s35, 1
	s_mov_b32 s1, 0
	v_sub_nc_u32_e32 v3, s0, v42
	v_add_nc_u32_e32 v4, 0, v2
	s_lshl_b32 s0, s44, 3
	s_lshl_b32 s5, s34, 3
	v_add_nc_u64_e32 v[0:1], 4, v[0:1]
	v_add_nc_u32_e32 v5, 1, v3
	s_sub_co_i32 s6, 0, s0
	s_lshl_b64 s[2:3], s[40:41], 3
	s_mov_b32 s7, s1
                                        ; implicit-def: $sgpr8
	s_branch .LBB2_149
.LBB2_148:                              ;   in Loop: Header=BB2_149 Depth=1
	s_or_b32 exec_lo, exec_lo, s11
	s_xor_b32 s10, s10, -1
	s_and_b32 s9, exec_lo, s9
	s_delay_alu instid0(SALU_CYCLE_1) | instskip(SKIP_2) | instid1(SALU_CYCLE_1)
	s_or_b32 s7, s9, s7
	s_and_not1_b32 s8, s8, exec_lo
	s_and_b32 s9, s10, exec_lo
	s_or_b32 s8, s8, s9
	s_and_not1_b32 exec_lo, exec_lo, s7
	s_cbranch_execz .LBB2_157
.LBB2_149:                              ; =>This Loop Header: Depth=1
                                        ;     Child Loop BB2_152 Depth 2
	s_mov_b32 s12, -1
	s_mov_b32 s9, exec_lo
	v_cmpx_le_i32_e64 v42, v43
	s_cbranch_execz .LBB2_155
; %bb.150:                              ;   in Loop: Header=BB2_149 Depth=1
	v_mad_nc_u64_u32 v[2:3], s2, v43, v[0:1]
	v_dual_mov_b32 v6, v5 :: v_dual_mov_b32 v7, v4
	v_mov_b32_e32 v8, v42
	s_mov_b32 s10, 0
                                        ; implicit-def: $sgpr11
                                        ; implicit-def: $sgpr13
                                        ; implicit-def: $sgpr12
	s_delay_alu instid0(VALU_DEP_3)
	v_mad_u32 v3, s3, v43, v3
	s_branch .LBB2_152
.LBB2_151:                              ;   in Loop: Header=BB2_152 Depth=2
	s_or_b32 exec_lo, exec_lo, s14
	s_xor_b32 s14, s12, -1
	s_and_b32 s15, exec_lo, s13
	s_delay_alu instid0(SALU_CYCLE_1) | instskip(SKIP_2) | instid1(SALU_CYCLE_1)
	s_or_b32 s10, s15, s10
	s_and_not1_b32 s11, s11, exec_lo
	s_and_b32 s14, s14, exec_lo
	s_or_b32 s11, s11, s14
	s_and_not1_b32 exec_lo, exec_lo, s10
	s_cbranch_execz .LBB2_154
.LBB2_152:                              ;   Parent Loop BB2_149 Depth=1
                                        ; =>  This Inner Loop Header: Depth=2
	s_or_b32 s12, s12, exec_lo
	s_or_b32 s13, s13, exec_lo
	s_mov_b32 s14, exec_lo
	v_cmpx_lt_i32_e32 -1, v8
	s_cbranch_execz .LBB2_151
; %bb.153:                              ;   in Loop: Header=BB2_152 Depth=2
	v_mul_lo_u32 v9, v6, v8
	v_subrev_nc_u32_e32 v6, s44, v6
	s_and_not1_b32 s13, s13, exec_lo
	s_and_not1_b32 s12, s12, exec_lo
	v_add_nc_u32_e32 v8, s44, v8
	s_delay_alu instid0(VALU_DEP_1) | instskip(NEXT) | instid1(VALU_DEP_4)
	v_cmp_gt_i32_e32 vcc_lo, v8, v43
	v_lshrrev_b32_e32 v10, 31, v9
	s_and_b32 s15, vcc_lo, exec_lo
	s_delay_alu instid0(VALU_DEP_1) | instskip(SKIP_1) | instid1(VALU_DEP_1)
	v_add_lshl_u32 v9, v9, v10, 2
	s_or_b32 s13, s13, s15
	v_and_b32_e32 v9, -8, v9
	s_delay_alu instid0(VALU_DEP_1)
	v_dual_add_nc_u32 v9, v7, v9 :: v_dual_add_nc_u32 v7, s6, v7
	ds_load_2addr_b32 v[10:11], v9 offset1:1
	s_wait_dscnt 0x0
	v_xor_b32_e32 v11, 0x80000000, v11
	global_store_b64 v[2:3], v[10:11], off offset:-4
	s_wait_xcnt 0x0
	v_add_nc_u64_e32 v[2:3], s[0:1], v[2:3]
	s_branch .LBB2_151
.LBB2_154:                              ;   in Loop: Header=BB2_149 Depth=1
	s_or_b32 exec_lo, exec_lo, s10
	s_delay_alu instid0(SALU_CYCLE_1)
	s_or_not1_b32 s12, s11, exec_lo
.LBB2_155:                              ;   in Loop: Header=BB2_149 Depth=1
	s_or_b32 exec_lo, exec_lo, s9
	s_mov_b32 s9, -1
	s_mov_b32 s10, -1
	s_and_saveexec_b32 s11, s12
	s_cbranch_execz .LBB2_148
; %bb.156:                              ;   in Loop: Header=BB2_149 Depth=1
	v_dual_add_nc_u32 v43, s34, v43 :: v_dual_add_nc_u32 v4, s5, v4
	s_xor_b32 s10, exec_lo, -1
	s_delay_alu instid0(VALU_DEP_1)
	v_cmp_le_i32_e32 vcc_lo, s35, v43
	s_or_not1_b32 s9, vcc_lo, exec_lo
	s_branch .LBB2_148
.LBB2_157:
	s_or_b32 exec_lo, exec_lo, s7
	s_delay_alu instid0(SALU_CYCLE_1)
	s_mov_b32 s49, exec_lo
	s_or_not1_b32 s0, s8, exec_lo
.LBB2_158:
	s_or_b32 exec_lo, exec_lo, s4
	s_and_saveexec_b32 s1, s0
	s_cbranch_execz .LBB2_98
.LBB2_159:
	s_wait_storecnt 0x0
	s_barrier_signal -1
	s_barrier_wait -1
	s_and_not1_b32 s49, s49, exec_lo
	s_or_b32 exec_lo, exec_lo, s1
	s_and_saveexec_b32 s0, s49
	s_delay_alu instid0(SALU_CYCLE_1)
	s_xor_b32 s21, exec_lo, s0
	s_cbranch_execnz .LBB2_99
	s_branch .LBB2_100
	.section	.rodata,"a",@progbits
	.p2align	6, 0x0
	.amdhsa_kernel _ZN9rocsolver6v33100L18potf2_kernel_smallI19rocblas_complex_numIfEiiPS3_EEvbT0_T2_lS5_lPT1_
		.amdhsa_group_segment_fixed_size 0
		.amdhsa_private_segment_fixed_size 64
		.amdhsa_kernarg_size 304
		.amdhsa_user_sgpr_count 2
		.amdhsa_user_sgpr_dispatch_ptr 0
		.amdhsa_user_sgpr_queue_ptr 0
		.amdhsa_user_sgpr_kernarg_segment_ptr 1
		.amdhsa_user_sgpr_dispatch_id 0
		.amdhsa_user_sgpr_kernarg_preload_length 0
		.amdhsa_user_sgpr_kernarg_preload_offset 0
		.amdhsa_user_sgpr_private_segment_size 0
		.amdhsa_wavefront_size32 1
		.amdhsa_uses_dynamic_stack 0
		.amdhsa_enable_private_segment 1
		.amdhsa_system_sgpr_workgroup_id_x 1
		.amdhsa_system_sgpr_workgroup_id_y 0
		.amdhsa_system_sgpr_workgroup_id_z 1
		.amdhsa_system_sgpr_workgroup_info 0
		.amdhsa_system_vgpr_workitem_id 2
		.amdhsa_next_free_vgpr 53
		.amdhsa_next_free_sgpr 52
		.amdhsa_named_barrier_count 0
		.amdhsa_reserve_vcc 1
		.amdhsa_float_round_mode_32 0
		.amdhsa_float_round_mode_16_64 0
		.amdhsa_float_denorm_mode_32 3
		.amdhsa_float_denorm_mode_16_64 3
		.amdhsa_fp16_overflow 0
		.amdhsa_memory_ordered 1
		.amdhsa_forward_progress 1
		.amdhsa_inst_pref_size 50
		.amdhsa_round_robin_scheduling 0
		.amdhsa_exception_fp_ieee_invalid_op 0
		.amdhsa_exception_fp_denorm_src 0
		.amdhsa_exception_fp_ieee_div_zero 0
		.amdhsa_exception_fp_ieee_overflow 0
		.amdhsa_exception_fp_ieee_underflow 0
		.amdhsa_exception_fp_ieee_inexact 0
		.amdhsa_exception_int_div_zero 0
	.end_amdhsa_kernel
	.section	.text._ZN9rocsolver6v33100L18potf2_kernel_smallI19rocblas_complex_numIfEiiPS3_EEvbT0_T2_lS5_lPT1_,"axG",@progbits,_ZN9rocsolver6v33100L18potf2_kernel_smallI19rocblas_complex_numIfEiiPS3_EEvbT0_T2_lS5_lPT1_,comdat
.Lfunc_end2:
	.size	_ZN9rocsolver6v33100L18potf2_kernel_smallI19rocblas_complex_numIfEiiPS3_EEvbT0_T2_lS5_lPT1_, .Lfunc_end2-_ZN9rocsolver6v33100L18potf2_kernel_smallI19rocblas_complex_numIfEiiPS3_EEvbT0_T2_lS5_lPT1_
                                        ; -- End function
	.set _ZN9rocsolver6v33100L18potf2_kernel_smallI19rocblas_complex_numIfEiiPS3_EEvbT0_T2_lS5_lPT1_.num_vgpr, max(44, .L__assert_fail.num_vgpr)
	.set _ZN9rocsolver6v33100L18potf2_kernel_smallI19rocblas_complex_numIfEiiPS3_EEvbT0_T2_lS5_lPT1_.num_agpr, max(0, .L__assert_fail.num_agpr)
	.set _ZN9rocsolver6v33100L18potf2_kernel_smallI19rocblas_complex_numIfEiiPS3_EEvbT0_T2_lS5_lPT1_.numbered_sgpr, max(52, .L__assert_fail.numbered_sgpr)
	.set _ZN9rocsolver6v33100L18potf2_kernel_smallI19rocblas_complex_numIfEiiPS3_EEvbT0_T2_lS5_lPT1_.num_named_barrier, max(0, .L__assert_fail.num_named_barrier)
	.set _ZN9rocsolver6v33100L18potf2_kernel_smallI19rocblas_complex_numIfEiiPS3_EEvbT0_T2_lS5_lPT1_.private_seg_size, 0+max(.L__assert_fail.private_seg_size)
	.set _ZN9rocsolver6v33100L18potf2_kernel_smallI19rocblas_complex_numIfEiiPS3_EEvbT0_T2_lS5_lPT1_.uses_vcc, or(1, .L__assert_fail.uses_vcc)
	.set _ZN9rocsolver6v33100L18potf2_kernel_smallI19rocblas_complex_numIfEiiPS3_EEvbT0_T2_lS5_lPT1_.uses_flat_scratch, or(0, .L__assert_fail.uses_flat_scratch)
	.set _ZN9rocsolver6v33100L18potf2_kernel_smallI19rocblas_complex_numIfEiiPS3_EEvbT0_T2_lS5_lPT1_.has_dyn_sized_stack, or(0, .L__assert_fail.has_dyn_sized_stack)
	.set _ZN9rocsolver6v33100L18potf2_kernel_smallI19rocblas_complex_numIfEiiPS3_EEvbT0_T2_lS5_lPT1_.has_recursion, or(0, .L__assert_fail.has_recursion)
	.set _ZN9rocsolver6v33100L18potf2_kernel_smallI19rocblas_complex_numIfEiiPS3_EEvbT0_T2_lS5_lPT1_.has_indirect_call, or(0, .L__assert_fail.has_indirect_call)
	.section	.AMDGPU.csdata,"",@progbits
; Kernel info:
; codeLenInByte = 6276
; TotalNumSgprs: 54
; NumVgprs: 53
; ScratchSize: 64
; MemoryBound: 0
; FloatMode: 240
; IeeeMode: 1
; LDSByteSize: 0 bytes/workgroup (compile time only)
; SGPRBlocks: 0
; VGPRBlocks: 3
; NumSGPRsForWavesPerEU: 54
; NumVGPRsForWavesPerEU: 53
; NamedBarCnt: 0
; Occupancy: 16
; WaveLimiterHint : 1
; COMPUTE_PGM_RSRC2:SCRATCH_EN: 1
; COMPUTE_PGM_RSRC2:USER_SGPR: 2
; COMPUTE_PGM_RSRC2:TRAP_HANDLER: 0
; COMPUTE_PGM_RSRC2:TGID_X_EN: 1
; COMPUTE_PGM_RSRC2:TGID_Y_EN: 0
; COMPUTE_PGM_RSRC2:TGID_Z_EN: 1
; COMPUTE_PGM_RSRC2:TIDIG_COMP_CNT: 2
	.section	.text._ZN9rocsolver6v33100L18potf2_kernel_smallI19rocblas_complex_numIfEiiPKPS3_EEvbT0_T2_lS7_lPT1_,"axG",@progbits,_ZN9rocsolver6v33100L18potf2_kernel_smallI19rocblas_complex_numIfEiiPKPS3_EEvbT0_T2_lS7_lPT1_,comdat
	.globl	_ZN9rocsolver6v33100L18potf2_kernel_smallI19rocblas_complex_numIfEiiPKPS3_EEvbT0_T2_lS7_lPT1_ ; -- Begin function _ZN9rocsolver6v33100L18potf2_kernel_smallI19rocblas_complex_numIfEiiPKPS3_EEvbT0_T2_lS7_lPT1_
	.p2align	8
	.type	_ZN9rocsolver6v33100L18potf2_kernel_smallI19rocblas_complex_numIfEiiPKPS3_EEvbT0_T2_lS7_lPT1_,@function
_ZN9rocsolver6v33100L18potf2_kernel_smallI19rocblas_complex_numIfEiiPKPS3_EEvbT0_T2_lS7_lPT1_: ; @_ZN9rocsolver6v33100L18potf2_kernel_smallI19rocblas_complex_numIfEiiPKPS3_EEvbT0_T2_lS7_lPT1_
; %bb.0:
	s_load_b64 s[34:35], s[0:1], 0x3c
	v_mov_b32_e32 v41, v0
	s_mov_b64 s[22:23], s[0:1]
	s_mov_b32 s32, 0
	s_wait_kmcnt 0x0
	s_and_b32 s0, s35, 0xffff
	s_delay_alu instid0(SALU_CYCLE_1)
	s_cmp_eq_u32 s0, 1
	s_cbranch_scc1 .LBB3_2
; %bb.1:
	s_get_pc_i64 s[0:1]
	s_add_nc_u64 s[0:1], s[0:1], .str@rel64+4
	s_get_pc_i64 s[2:3]
	s_add_nc_u64 s[2:3], s[2:3], __PRETTY_FUNCTION__._ZN9rocsolver6v33100L18potf2_kernel_smallI19rocblas_complex_numIfEiiPKPS3_EEvbT0_T2_lS7_lPT1_@rel64+4
	v_dual_mov_b32 v0, s0 :: v_dual_mov_b32 v1, s1
	v_dual_mov_b32 v2, 0x125 :: v_dual_mov_b32 v3, s2
	v_mov_b32_e32 v4, s3
	s_add_nc_u64 s[8:9], s[22:23], 48
	s_get_pc_i64 s[4:5]
	s_add_nc_u64 s[4:5], s[4:5], __assert_fail@rel64+4
	s_delay_alu instid0(SALU_CYCLE_1)
	s_swap_pc_i64 s[30:31], s[4:5]
	s_mov_b32 s35, -1
	s_cbranch_execz .LBB3_3
	s_branch .LBB3_114
.LBB3_2:
	s_mov_b32 s35, 0
.LBB3_3:
	s_load_b128 s[0:3], s[22:23], 0x8
	s_wait_kmcnt 0x0
	s_cmp_lg_u64 s[0:1], 0
	s_cbranch_scc0 .LBB3_9
; %bb.4:
	s_load_b64 s[28:29], s[22:23], 0x28
	s_wait_kmcnt 0x0
	s_cmp_lg_u64 s[28:29], 0
	s_cbranch_scc0 .LBB3_10
; %bb.5:
	s_bfe_u32 s4, ttmp6, 0x40014
	s_lshr_b32 s5, ttmp7, 16
	s_add_co_i32 s4, s4, 1
	s_bfe_u32 s6, ttmp6, 0x40008
	s_mul_i32 s4, s5, s4
	s_getreg_b32 s7, hwreg(HW_REG_IB_STS2, 6, 4)
	s_add_co_i32 s6, s6, s4
	s_cmp_eq_u32 s7, 0
	s_cselect_b32 s39, s5, s6
	s_delay_alu instid0(SALU_CYCLE_1)
	v_mov_b32_e32 v0, s39
	global_load_b64 v[0:1], v0, s[0:1] scale_offset
	s_wait_xcnt 0x0
	s_mov_b32 s0, 0
	s_wait_loadcnt 0x0
	v_cmp_ne_u64_e32 vcc_lo, 0, v[0:1]
	s_cbranch_vccz .LBB3_11
; %bb.6:
	s_clause 0x1
	s_load_b64 s[24:25], s[22:23], 0x0
	s_load_b32 s26, s[22:23], 0x18
	v_bfe_u32 v45, v41, 10, 10
	s_lshl_b64 s[2:3], s[2:3], 3
	v_and_b32_e32 v44, 0x3ff, v41
	v_add_nc_u64_e32 v[42:43], s[2:3], v[0:1]
	s_mov_b32 s1, -1
	s_wait_storecnt 0x0
	s_barrier_signal -1
	s_barrier_wait -1
	s_wait_kmcnt 0x0
	s_bitcmp1_b32 s24, 0
	v_cmp_gt_i32_e64 s21, s25, v45
	s_cselect_b32 s2, -1, 0
	s_lshr_b32 s24, s34, 16
	s_xor_b32 s38, s2, -1
	s_and_b32 s34, s34, 0xffff
	s_and_b32 vcc_lo, exec_lo, s38
	s_cbranch_vccnz .LBB3_12
; %bb.7:
	s_and_b32 vcc_lo, exec_lo, s1
	s_mov_b32 s36, 0
	s_cbranch_vccnz .LBB3_39
.LBB3_8:
	s_and_saveexec_b32 s37, s0
	s_cbranch_execnz .LBB3_52
	s_branch .LBB3_106
.LBB3_9:
	s_cbranch_execnz .LBB3_113
	s_branch .LBB3_114
.LBB3_10:
	s_cbranch_execnz .LBB3_111
	s_branch .LBB3_112
.LBB3_11:
	s_cbranch_execnz .LBB3_109
	s_branch .LBB3_110
.LBB3_12:
	s_mov_b32 s0, -1
	s_and_saveexec_b32 s36, s21
	s_cbranch_execz .LBB3_38
; %bb.13:
	v_dual_add_nc_u32 v6, v45, v44 :: v_dual_mov_b32 v0, v45
	v_lshl_add_u32 v7, v44, 3, 0
	s_lshl_b32 s0, s25, 1
	s_ashr_i32 s27, s26, 31
	s_or_b32 s6, s0, 1
	s_mov_b32 s4, 0
	s_lshl_b32 s7, s34, 3
                                        ; implicit-def: $sgpr5
                                        ; implicit-def: $sgpr3
                                        ; implicit-def: $sgpr2
                                        ; implicit-def: $sgpr8
	s_branch .LBB3_15
.LBB3_14:                               ;   in Loop: Header=BB3_15 Depth=1
	s_or_b32 exec_lo, exec_lo, s11
	s_xor_b32 s0, s9, -1
	s_xor_b32 s9, s10, -1
	s_and_b32 s1, exec_lo, s1
	s_delay_alu instid0(SALU_CYCLE_1)
	s_or_b32 s4, s1, s4
	s_and_not1_b32 s1, s2, exec_lo
	s_and_b32 s2, s8, exec_lo
	s_and_b32 s0, s0, exec_lo
	s_or_b32 s2, s1, s2
	s_and_not1_b32 s1, s3, exec_lo
	s_and_not1_b32 s5, s5, exec_lo
	s_and_b32 s9, s9, exec_lo
	s_or_b32 s3, s1, s0
	s_or_b32 s5, s5, s9
	s_and_not1_b32 exec_lo, exec_lo, s4
	s_cbranch_execz .LBB3_27
.LBB3_15:                               ; =>This Loop Header: Depth=1
                                        ;     Child Loop BB3_20 Depth 2
	v_add_nc_u32_e32 v2, v0, v44
	s_mov_b32 s0, -1
	s_mov_b32 s11, exec_lo
                                        ; implicit-def: $sgpr10
                                        ; implicit-def: $sgpr9
                                        ; implicit-def: $sgpr12
	s_delay_alu instid0(VALU_DEP_1)
	v_cmpx_gt_i32_e64 s25, v2
	s_cbranch_execz .LBB3_25
; %bb.16:                               ;   in Loop: Header=BB3_15 Depth=1
	v_ashrrev_i32_e32 v1, 31, v0
	v_cmp_ge_u32_e64 s0, v6, v0
	s_mov_b32 s13, 0
	v_cmp_lt_i32_e32 vcc_lo, -1, v0
                                        ; implicit-def: $sgpr14
                                        ; implicit-def: $sgpr12
                                        ; implicit-def: $sgpr9
                                        ; implicit-def: $sgpr10
                                        ; implicit-def: $sgpr16
                                        ; implicit-def: $sgpr19
                                        ; implicit-def: $sgpr17
                                        ; implicit-def: $sgpr15
                                        ; implicit-def: $sgpr18
	v_mul_u64_e32 v[4:5], s[26:27], v[0:1]
	v_sub_nc_u32_e32 v1, s6, v0
	s_delay_alu instid0(VALU_DEP_1) | instskip(NEXT) | instid1(VALU_DEP_1)
	v_mul_lo_u32 v1, v1, v0
	v_lshrrev_b32_e32 v3, 31, v1
	s_delay_alu instid0(VALU_DEP_1) | instskip(NEXT) | instid1(VALU_DEP_1)
	v_add_lshl_u32 v1, v1, v3, 2
	v_and_b32_e32 v1, -8, v1
	s_delay_alu instid0(VALU_DEP_1)
	v_add_nc_u32_e32 v1, v7, v1
	v_lshl_add_u64 v[4:5], v[4:5], 3, v[42:43]
	s_branch .LBB3_20
.LBB3_17:                               ;   in Loop: Header=BB3_20 Depth=2
	s_wait_xcnt 0x0
	s_or_b32 exec_lo, exec_lo, s33
	s_delay_alu instid0(SALU_CYCLE_1)
	s_mov_b32 s1, exec_lo
	s_or_not1_b32 s37, s37, exec_lo
	s_xor_b32 s33, exec_lo, -1
	s_or_not1_b32 s31, s31, exec_lo
.LBB3_18:                               ;   in Loop: Header=BB3_20 Depth=2
	s_or_b32 exec_lo, exec_lo, s30
	s_delay_alu instid0(SALU_CYCLE_1)
	s_and_not1_b32 s18, s18, exec_lo
	s_and_b32 s30, s37, exec_lo
	s_and_not1_b32 s17, s17, exec_lo
	s_or_b32 s18, s18, s30
	s_and_b32 s30, s33, exec_lo
	s_and_not1_b32 s19, s19, exec_lo
	s_or_b32 s17, s17, s30
	s_and_b32 s1, s1, exec_lo
	s_and_not1_b32 s16, s16, exec_lo
	s_and_b32 s30, s31, exec_lo
	s_and_not1_b32 s15, s15, exec_lo
	s_or_b32 s19, s19, s1
	s_or_b32 s16, s16, s30
.LBB3_19:                               ;   in Loop: Header=BB3_20 Depth=2
	s_or_b32 exec_lo, exec_lo, s20
	s_xor_b32 s1, s18, -1
	s_and_b32 s20, exec_lo, s16
	s_delay_alu instid0(SALU_CYCLE_1)
	s_or_b32 s13, s20, s13
	s_and_not1_b32 s10, s10, exec_lo
	s_and_b32 s20, s15, exec_lo
	s_and_not1_b32 s9, s9, exec_lo
	s_and_b32 s30, s17, exec_lo
	s_or_b32 s10, s10, s20
	s_and_not1_b32 s12, s12, exec_lo
	s_and_b32 s20, s19, exec_lo
	s_and_not1_b32 s14, s14, exec_lo
	s_and_b32 s1, s1, exec_lo
	s_or_b32 s9, s9, s30
	s_or_b32 s12, s12, s20
	;; [unrolled: 1-line block ×3, first 2 shown]
	s_and_not1_b32 exec_lo, exec_lo, s13
	s_cbranch_execz .LBB3_24
.LBB3_20:                               ;   Parent Loop BB3_15 Depth=1
                                        ; =>  This Inner Loop Header: Depth=2
	s_or_b32 s18, s18, exec_lo
	s_or_b32 s15, s15, exec_lo
	s_and_not1_b32 s17, s17, exec_lo
	s_and_not1_b32 s19, s19, exec_lo
	s_or_b32 s16, s16, exec_lo
	s_mov_b32 s20, exec_lo
	v_cmpx_lt_i32_e32 -1, v2
	s_cbranch_execz .LBB3_19
; %bb.21:                               ;   in Loop: Header=BB3_20 Depth=2
	s_mov_b32 s1, 0
	s_mov_b32 s31, -1
	s_mov_b32 s33, -1
	;; [unrolled: 1-line block ×3, first 2 shown]
	s_and_saveexec_b32 s30, vcc_lo
	s_cbranch_execz .LBB3_18
; %bb.22:                               ;   in Loop: Header=BB3_20 Depth=2
	s_and_saveexec_b32 s33, s0
	s_cbranch_execz .LBB3_17
; %bb.23:                               ;   in Loop: Header=BB3_20 Depth=2
	v_ashrrev_i32_e32 v3, 31, v2
	s_xor_b32 s37, exec_lo, -1
	s_delay_alu instid0(VALU_DEP_1)
	v_lshl_add_u64 v[8:9], v[2:3], 3, v[4:5]
	v_add_nc_u32_e32 v2, s34, v2
	flat_load_b64 v[8:9], v[8:9]
	v_cmp_le_i32_e64 s1, s25, v2
	s_or_not1_b32 s31, s1, exec_lo
	s_wait_loadcnt_dscnt 0x0
	ds_store_2addr_b32 v1, v8, v9 offset1:1
	v_add_nc_u32_e32 v1, s7, v1
	s_branch .LBB3_17
.LBB3_24:                               ;   in Loop: Header=BB3_15 Depth=1
	s_or_b32 exec_lo, exec_lo, s13
	s_delay_alu instid0(SALU_CYCLE_1)
	s_or_not1_b32 s0, s14, exec_lo
.LBB3_25:                               ;   in Loop: Header=BB3_15 Depth=1
	s_or_b32 exec_lo, exec_lo, s11
	s_delay_alu instid0(SALU_CYCLE_1)
	s_and_not1_b32 s8, s8, exec_lo
	s_and_b32 s11, s12, exec_lo
	s_mov_b32 s1, -1
	s_or_b32 s8, s8, s11
	s_and_saveexec_b32 s11, s0
	s_cbranch_execz .LBB3_14
; %bb.26:                               ;   in Loop: Header=BB3_15 Depth=1
	v_dual_add_nc_u32 v0, s24, v0 :: v_dual_add_nc_u32 v6, s24, v6
	s_and_not1_b32 s8, s8, exec_lo
	s_and_not1_b32 s9, s9, exec_lo
	s_and_not1_b32 s10, s10, exec_lo
	s_delay_alu instid0(VALU_DEP_1)
	v_cmp_le_i32_e32 vcc_lo, s25, v0
	s_or_not1_b32 s1, vcc_lo, exec_lo
	s_branch .LBB3_14
.LBB3_27:
	s_or_b32 exec_lo, exec_lo, s4
	s_mov_b32 s37, 0
	s_mov_b32 s41, s35
	s_and_saveexec_b32 s0, s5
	s_delay_alu instid0(SALU_CYCLE_1)
	s_xor_b32 s27, exec_lo, s0
	s_cbranch_execz .LBB3_35
; %bb.28:
	s_mov_b32 s40, 0
	s_mov_b32 s41, s35
	s_and_saveexec_b32 s0, s3
	s_delay_alu instid0(SALU_CYCLE_1)
	s_xor_b32 s37, exec_lo, s0
	s_cbranch_execz .LBB3_32
; %bb.29:
	s_mov_b32 s0, -1
	s_mov_b32 s1, s35
	s_and_saveexec_b32 s3, s2
	s_delay_alu instid0(SALU_CYCLE_1)
	s_xor_b32 s40, exec_lo, s3
	s_cbranch_execz .LBB3_31
; %bb.30:
	s_get_pc_i64 s[0:1]
	s_add_nc_u64 s[0:1], s[0:1], .str.10@rel64+4
	s_get_pc_i64 s[2:3]
	s_add_nc_u64 s[2:3], s[2:3], __PRETTY_FUNCTION__._ZN9rocsolver6v33100L9idx_lowerIiEET_S2_S2_S2_@rel64+4
	v_dual_mov_b32 v0, s0 :: v_dual_mov_b32 v1, s1
	v_dual_mov_b32 v2, 0x51 :: v_dual_mov_b32 v3, s2
	v_mov_b32_e32 v4, s3
	s_add_nc_u64 s[8:9], s[22:23], 48
	s_get_pc_i64 s[4:5]
	s_add_nc_u64 s[4:5], s[4:5], __assert_fail@rel64+4
	s_delay_alu instid0(SALU_CYCLE_1)
	s_swap_pc_i64 s[30:31], s[4:5]
	s_or_b32 s1, s35, exec_lo
	s_xor_b32 s0, exec_lo, -1
.LBB3_31:
	s_or_b32 exec_lo, exec_lo, s40
	s_delay_alu instid0(SALU_CYCLE_1)
	s_and_not1_b32 s2, s35, exec_lo
	s_and_b32 s1, s1, exec_lo
	s_and_b32 s40, s0, exec_lo
	s_or_b32 s41, s2, s1
.LBB3_32:
	s_and_not1_saveexec_b32 s37, s37
	s_cbranch_execz .LBB3_34
; %bb.33:
	s_get_pc_i64 s[0:1]
	s_add_nc_u64 s[0:1], s[0:1], .str.9@rel64+4
	s_get_pc_i64 s[2:3]
	s_add_nc_u64 s[2:3], s[2:3], __PRETTY_FUNCTION__._ZN9rocsolver6v33100L9idx_lowerIiEET_S2_S2_S2_@rel64+4
	v_dual_mov_b32 v0, s0 :: v_dual_mov_b32 v1, s1
	v_dual_mov_b32 v2, 0x50 :: v_dual_mov_b32 v3, s2
	v_mov_b32_e32 v4, s3
	s_add_nc_u64 s[8:9], s[22:23], 48
	s_get_pc_i64 s[4:5]
	s_add_nc_u64 s[4:5], s[4:5], __assert_fail@rel64+4
	s_delay_alu instid0(SALU_CYCLE_1)
	s_swap_pc_i64 s[30:31], s[4:5]
	s_or_b32 s41, s41, exec_lo
.LBB3_34:
	s_or_b32 exec_lo, exec_lo, s37
	s_delay_alu instid0(SALU_CYCLE_1)
	s_and_not1_b32 s0, s35, exec_lo
	s_and_b32 s1, s41, exec_lo
	s_and_b32 s37, s40, exec_lo
	s_or_b32 s41, s0, s1
.LBB3_35:
	s_and_not1_saveexec_b32 s27, s27
	s_cbranch_execz .LBB3_37
; %bb.36:
	s_get_pc_i64 s[0:1]
	s_add_nc_u64 s[0:1], s[0:1], .str.8@rel64+4
	s_get_pc_i64 s[2:3]
	s_add_nc_u64 s[2:3], s[2:3], __PRETTY_FUNCTION__._ZN9rocsolver6v33100L9idx_lowerIiEET_S2_S2_S2_@rel64+4
	v_dual_mov_b32 v0, s0 :: v_dual_mov_b32 v1, s1
	v_dual_mov_b32 v2, 0x4f :: v_dual_mov_b32 v3, s2
	v_mov_b32_e32 v4, s3
	s_add_nc_u64 s[8:9], s[22:23], 48
	s_get_pc_i64 s[4:5]
	s_add_nc_u64 s[4:5], s[4:5], __assert_fail@rel64+4
	s_delay_alu instid0(SALU_CYCLE_1)
	s_swap_pc_i64 s[30:31], s[4:5]
	s_or_b32 s41, s41, exec_lo
.LBB3_37:
	s_or_b32 exec_lo, exec_lo, s27
	s_delay_alu instid0(SALU_CYCLE_1) | instskip(SKIP_1) | instid1(SALU_CYCLE_1)
	s_and_not1_b32 s0, s35, exec_lo
	s_and_b32 s1, s41, exec_lo
	s_or_b32 s35, s0, s1
	s_or_not1_b32 s0, s37, exec_lo
.LBB3_38:
	s_or_b32 exec_lo, exec_lo, s36
	s_mov_b32 s36, 0
	s_branch .LBB3_8
.LBB3_39:
	s_mov_b32 s0, -1
	s_and_saveexec_b32 s4, s21
	s_cbranch_execz .LBB3_51
; %bb.40:
	v_dual_lshlrev_b32 v2, 3, v45 :: v_dual_lshlrev_b32 v0, 3, v44
	v_mov_b32_e32 v1, 0
	s_lshl_b32 s0, s25, 1
	s_ashr_i32 s27, s26, 31
	s_mov_b32 s1, 0
	v_sub_nc_u32_e32 v2, v2, v0
	v_add_nc_u64_e32 v[0:1], v[42:43], v[0:1]
	v_sub_nc_u32_e32 v3, s0, v44
	s_lshl_b32 s0, s34, 3
	s_delay_alu instid0(VALU_DEP_3) | instskip(SKIP_1) | instid1(VALU_DEP_2)
	v_dual_mov_b32 v6, v45 :: v_dual_add_nc_u32 v4, 0, v2
	s_lshl_b32 s5, s24, 3
	v_add_nc_u32_e32 v5, 1, v3
	s_delay_alu instid0(VALU_DEP_4)
	v_add_nc_u64_e32 v[0:1], 4, v[0:1]
	s_sub_co_i32 s6, 0, s0
	s_lshl_b64 s[2:3], s[26:27], 3
	s_mov_b32 s7, s1
                                        ; implicit-def: $sgpr8
	s_branch .LBB3_42
.LBB3_41:                               ;   in Loop: Header=BB3_42 Depth=1
	s_or_b32 exec_lo, exec_lo, s11
	s_xor_b32 s10, s10, -1
	s_and_b32 s9, exec_lo, s9
	s_delay_alu instid0(SALU_CYCLE_1) | instskip(SKIP_2) | instid1(SALU_CYCLE_1)
	s_or_b32 s7, s9, s7
	s_and_not1_b32 s8, s8, exec_lo
	s_and_b32 s9, s10, exec_lo
	s_or_b32 s8, s8, s9
	s_and_not1_b32 exec_lo, exec_lo, s7
	s_cbranch_execz .LBB3_50
.LBB3_42:                               ; =>This Loop Header: Depth=1
                                        ;     Child Loop BB3_45 Depth 2
	s_mov_b32 s12, -1
	s_mov_b32 s9, exec_lo
	v_cmpx_le_i32_e64 v44, v6
	s_cbranch_execz .LBB3_48
; %bb.43:                               ;   in Loop: Header=BB3_42 Depth=1
	v_mad_nc_u64_u32 v[2:3], s2, v6, v[0:1]
	v_dual_mov_b32 v7, v5 :: v_dual_mov_b32 v8, v4
	v_mov_b32_e32 v9, v44
	s_mov_b32 s10, 0
                                        ; implicit-def: $sgpr11
                                        ; implicit-def: $sgpr13
                                        ; implicit-def: $sgpr12
	s_delay_alu instid0(VALU_DEP_3)
	v_mad_u32 v3, s3, v6, v3
	s_branch .LBB3_45
.LBB3_44:                               ;   in Loop: Header=BB3_45 Depth=2
	s_or_b32 exec_lo, exec_lo, s14
	s_xor_b32 s14, s12, -1
	s_and_b32 s15, exec_lo, s13
	s_delay_alu instid0(SALU_CYCLE_1) | instskip(SKIP_2) | instid1(SALU_CYCLE_1)
	s_or_b32 s10, s15, s10
	s_and_not1_b32 s11, s11, exec_lo
	s_and_b32 s14, s14, exec_lo
	s_or_b32 s11, s11, s14
	s_and_not1_b32 exec_lo, exec_lo, s10
	s_cbranch_execz .LBB3_47
.LBB3_45:                               ;   Parent Loop BB3_42 Depth=1
                                        ; =>  This Inner Loop Header: Depth=2
	s_or_b32 s12, s12, exec_lo
	s_or_b32 s13, s13, exec_lo
	s_mov_b32 s14, exec_lo
	v_cmpx_lt_i32_e32 -1, v9
	s_cbranch_execz .LBB3_44
; %bb.46:                               ;   in Loop: Header=BB3_45 Depth=2
	flat_load_b64 v[10:11], v[2:3] offset:-4
	v_mul_lo_u32 v12, v7, v9
	s_wait_xcnt 0x0
	v_add_nc_u64_e32 v[2:3], s[0:1], v[2:3]
	v_subrev_nc_u32_e32 v7, s34, v7
	s_and_not1_b32 s13, s13, exec_lo
	s_and_not1_b32 s12, s12, exec_lo
	v_add_nc_u32_e32 v9, s34, v9
	s_delay_alu instid0(VALU_DEP_1) | instskip(SKIP_2) | instid1(VALU_DEP_1)
	v_cmp_gt_i32_e32 vcc_lo, v9, v6
	v_lshrrev_b32_e32 v13, 31, v12
	s_and_b32 s15, vcc_lo, exec_lo
	v_add_lshl_u32 v12, v12, v13, 2
	s_or_b32 s13, s13, s15
	s_delay_alu instid0(VALU_DEP_1) | instskip(NEXT) | instid1(VALU_DEP_1)
	v_and_b32_e32 v12, -8, v12
	v_add_nc_u32_e32 v12, v8, v12
	v_add_nc_u32_e32 v8, s6, v8
	s_wait_loadcnt_dscnt 0x0
	v_xor_b32_e32 v11, 0x80000000, v11
	ds_store_2addr_b32 v12, v10, v11 offset1:1
	s_branch .LBB3_44
.LBB3_47:                               ;   in Loop: Header=BB3_42 Depth=1
	s_or_b32 exec_lo, exec_lo, s10
	s_delay_alu instid0(SALU_CYCLE_1)
	s_or_not1_b32 s12, s11, exec_lo
.LBB3_48:                               ;   in Loop: Header=BB3_42 Depth=1
	s_or_b32 exec_lo, exec_lo, s9
	s_mov_b32 s9, -1
	s_mov_b32 s10, -1
	s_and_saveexec_b32 s11, s12
	s_cbranch_execz .LBB3_41
; %bb.49:                               ;   in Loop: Header=BB3_42 Depth=1
	v_dual_add_nc_u32 v6, s24, v6 :: v_dual_add_nc_u32 v4, s5, v4
	s_xor_b32 s10, exec_lo, -1
	s_delay_alu instid0(VALU_DEP_1)
	v_cmp_le_i32_e32 vcc_lo, s25, v6
	s_or_not1_b32 s9, vcc_lo, exec_lo
	s_branch .LBB3_41
.LBB3_50:
	s_or_b32 exec_lo, exec_lo, s7
	s_delay_alu instid0(SALU_CYCLE_1)
	s_mov_b32 s36, exec_lo
	s_or_not1_b32 s0, s8, exec_lo
.LBB3_51:
	s_or_b32 exec_lo, exec_lo, s4
	s_and_saveexec_b32 s37, s0
	s_cbranch_execz .LBB3_106
.LBB3_52:
	s_cmp_gt_i32 s25, 0
	s_mov_b32 s3, 0
	s_wait_storecnt_dscnt 0x0
	s_barrier_signal -1
	s_barrier_wait -1
	s_cbranch_scc0 .LBB3_94
; %bb.53:
	v_mad_u32_u24 v0, v45, s34, v44
	v_bfe_u32 v1, v41, 20, 10
	s_mul_i32 s6, s24, s34
	s_lshl_b32 s0, s25, 1
	v_lshl_add_u32 v5, v44, 3, 0
	s_or_b32 s8, s0, 1
	v_mad_u32 v4, s6, v1, v0
	v_dual_mov_b32 v7, 0 :: v_dual_lshlrev_b32 v0, 3, v45
	s_lshl_b32 s2, s39, 2
	s_lshl_b32 s9, s6, 3
	s_add_nc_u64 s[4:5], s[28:29], s[2:3]
	s_delay_alu instid0(VALU_DEP_1) | instskip(SKIP_3) | instid1(VALU_DEP_3)
	v_sub_nc_u32_e32 v6, 0, v0
	s_lshl_b32 s10, s34, 3
	s_lshl_b32 s11, s24, 3
	s_mov_b32 s13, 0
                                        ; implicit-def: $sgpr12
                                        ; implicit-def: $sgpr7
                                        ; implicit-def: $sgpr2
	v_cmp_eq_u32_e64 s0, 0, v4
	s_branch .LBB3_55
.LBB3_54:                               ;   in Loop: Header=BB3_55 Depth=1
	s_or_b32 exec_lo, exec_lo, s16
	s_xor_b32 s14, s27, -1
	s_xor_b32 s15, s19, -1
	;; [unrolled: 1-line block ×3, first 2 shown]
	s_and_b32 s1, exec_lo, s1
	s_delay_alu instid0(SALU_CYCLE_1)
	s_or_b32 s3, s1, s3
	s_and_not1_b32 s1, s2, exec_lo
	s_and_b32 s2, s14, exec_lo
	s_and_not1_b32 s12, s12, exec_lo
	s_or_b32 s2, s1, s2
	s_and_not1_b32 s1, s7, exec_lo
	s_and_b32 s7, s15, exec_lo
	s_and_b32 s14, s16, exec_lo
	s_or_b32 s7, s1, s7
	s_or_b32 s12, s12, s14
	s_and_not1_b32 exec_lo, exec_lo, s3
	s_cbranch_execz .LBB3_89
.LBB3_55:                               ; =>This Loop Header: Depth=1
                                        ;     Child Loop BB3_67 Depth 2
                                        ;     Child Loop BB3_77 Depth 2
                                        ;       Child Loop BB3_81 Depth 3
	s_sub_co_i32 s1, s8, s13
	s_mov_b32 s15, 0
	s_mul_i32 s1, s1, s13
	s_mov_b32 s18, -1
	s_lshr_b32 s14, s1, 31
	s_delay_alu instid0(SALU_CYCLE_1) | instskip(NEXT) | instid1(SALU_CYCLE_1)
	s_add_co_i32 s1, s1, s14
	s_ashr_i32 s27, s1, 1
	s_delay_alu instid0(SALU_CYCLE_1) | instskip(NEXT) | instid1(SALU_CYCLE_1)
	s_lshl_b32 s16, s27, 3
	s_add_co_i32 s17, s16, 0
	s_delay_alu instid0(SALU_CYCLE_1)
	v_mov_b32_e32 v0, s17
	ds_load_b32 v0, v0
	s_wait_dscnt 0x0
	v_cmp_class_f32_e64 s14, v0, 0x180
	v_readfirstlane_b32 s1, v0
	s_and_b32 vcc_lo, exec_lo, s14
	s_cbranch_vccnz .LBB3_60
; %bb.56:                               ;   in Loop: Header=BB3_55 Depth=1
	s_and_saveexec_b32 s15, s0
	s_cbranch_execz .LBB3_59
; %bb.57:                               ;   in Loop: Header=BB3_55 Depth=1
	global_load_b32 v0, v7, s[4:5]
	s_wait_loadcnt 0x0
	v_cmp_ne_u32_e32 vcc_lo, 0, v0
	v_mov_b32_e32 v0, s17
	ds_store_b32 v0, v7 offset:4
	s_cbranch_vccnz .LBB3_59
; %bb.58:                               ;   in Loop: Header=BB3_55 Depth=1
	s_add_co_i32 s18, s13, 1
	s_delay_alu instid0(SALU_CYCLE_1)
	v_mov_b32_e32 v0, s18
	global_store_b32 v7, v0, s[4:5]
.LBB3_59:                               ;   in Loop: Header=BB3_55 Depth=1
	s_wait_xcnt 0x0
	s_or_b32 exec_lo, exec_lo, s15
	s_mov_b32 s18, 0
	s_mov_b32 s15, -1
.LBB3_60:                               ;   in Loop: Header=BB3_55 Depth=1
	s_and_not1_b32 vcc_lo, exec_lo, s18
	s_cbranch_vccnz .LBB3_70
; %bb.61:                               ;   in Loop: Header=BB3_55 Depth=1
	s_mul_f32 s18, s1, 0x4f800000
	s_cmp_lt_f32 s1, 0xf800000
	s_delay_alu instid0(SALU_CYCLE_2) | instskip(NEXT) | instid1(SALU_CYCLE_1)
	s_cselect_b32 s18, s18, s1
	v_s_sqrt_f32 s19, s18
	s_mov_b32 s28, s18
	s_delay_alu instid0(TRANS32_DEP_1) | instskip(NEXT) | instid1(SALU_CYCLE_1)
	s_add_co_i32 s20, s19, -1
	s_xor_b32 s29, s20, 0x80000000
	s_delay_alu instid0(SALU_CYCLE_1) | instskip(SKIP_1) | instid1(SALU_CYCLE_2)
	s_fmac_f32 s28, s29, s19
	s_mov_b32 s29, s18
	s_cmp_le_f32 s28, 0
	s_cselect_b32 s20, s20, s19
	s_add_co_i32 s28, s19, 1
	s_delay_alu instid0(SALU_CYCLE_1) | instskip(NEXT) | instid1(SALU_CYCLE_1)
	s_xor_b32 s30, s28, 0x80000000
	s_fmac_f32 s29, s30, s19
	s_delay_alu instid0(SALU_CYCLE_3) | instskip(SKIP_4) | instid1(SALU_CYCLE_2)
	s_cmp_gt_f32 s29, 0
	s_cselect_b32 s19, s28, s20
	s_cmp_lt_f32 s1, 0xf800000
	s_mul_f32 s1, s19, 0x37800000
	v_cmp_class_f32_e64 s20, s18, 0x260
	s_cselect_b32 s1, s1, s19
	s_and_b32 s19, s20, exec_lo
	s_cselect_b32 s28, s18, s1
	s_and_saveexec_b32 s1, s0
; %bb.62:                               ;   in Loop: Header=BB3_55 Depth=1
	v_dual_mov_b32 v0, s17 :: v_dual_mov_b32 v1, s28
	ds_store_2addr_b32 v0, v1, v7 offset1:1
; %bb.63:                               ;   in Loop: Header=BB3_55 Depth=1
	s_or_b32 exec_lo, exec_lo, s1
	s_add_co_i32 s1, s13, 1
	s_mov_b32 s29, -1
	v_add_nc_u32_e32 v8, s1, v4
	s_mov_b32 s20, exec_lo
	s_wait_storecnt_dscnt 0x0
	s_barrier_signal -1
	s_barrier_wait -1
                                        ; implicit-def: $sgpr18
                                        ; implicit-def: $sgpr19
	v_cmpx_gt_i32_e64 s25, v8
	s_cbranch_execz .LBB3_72
; %bb.64:                               ;   in Loop: Header=BB3_55 Depth=1
	v_div_scale_f32 v0, null, s28, s28, 0
	v_div_scale_f32 v3, vcc_lo, 0, s28, 0
                                        ; implicit-def: $sgpr19
                                        ; implicit-def: $sgpr18
                                        ; implicit-def: $sgpr31
                                        ; implicit-def: $sgpr29
                                        ; implicit-def: $sgpr30
                                        ; implicit-def: $sgpr33
	s_delay_alu instid0(VALU_DEP_2)
	v_rcp_f32_e32 v1, v0
	v_nop
	v_xor_b32_e32 v0, 0x80000000, v0
	s_delay_alu instid0(TRANS32_DEP_1) | instid1(VALU_DEP_1)
	v_fma_f32 v2, v0, v1, 1.0
	s_delay_alu instid0(VALU_DEP_1) | instskip(NEXT) | instid1(VALU_DEP_1)
	v_fmac_f32_e32 v1, v2, v1
	v_mul_f32_e32 v2, v3, v1
	s_delay_alu instid0(VALU_DEP_1) | instskip(NEXT) | instid1(VALU_DEP_1)
	v_fma_f32 v9, v0, v2, v3
	v_fmac_f32_e32 v2, v9, v1
	s_delay_alu instid0(VALU_DEP_1) | instskip(NEXT) | instid1(VALU_DEP_1)
	v_fmac_f32_e32 v3, v0, v2
	v_div_fmas_f32 v0, v3, v1, v2
	s_delay_alu instid0(VALU_DEP_1) | instskip(NEXT) | instid1(VALU_DEP_1)
	v_div_fixup_f32 v0, v0, s28, 0
	v_fma_f32 v1, v0, 0, s28
                                        ; implicit-def: $sgpr28
	s_delay_alu instid0(VALU_DEP_1) | instskip(SKIP_1) | instid1(VALU_DEP_2)
	v_div_scale_f32 v2, null, v1, v1, 1.0
	v_div_scale_f32 v10, vcc_lo, 1.0, v1, 1.0
	v_rcp_f32_e32 v3, v2
	v_nop
	v_xor_b32_e32 v2, 0x80000000, v2
	s_delay_alu instid0(TRANS32_DEP_1) | instid1(VALU_DEP_1)
	v_fma_f32 v9, v2, v3, 1.0
	s_delay_alu instid0(VALU_DEP_1) | instskip(NEXT) | instid1(VALU_DEP_1)
	v_fmac_f32_e32 v3, v9, v3
	v_mul_f32_e32 v9, v10, v3
	s_delay_alu instid0(VALU_DEP_1) | instskip(NEXT) | instid1(VALU_DEP_1)
	v_fma_f32 v11, v2, v9, v10
	v_fmac_f32_e32 v9, v11, v3
	s_delay_alu instid0(VALU_DEP_1) | instskip(NEXT) | instid1(VALU_DEP_1)
	v_fmac_f32_e32 v10, v2, v9
	v_div_fmas_f32 v2, v10, v3, v9
	v_add_lshl_u32 v9, v4, s27, 3
	s_mov_b32 s27, 0
	s_delay_alu instid0(VALU_DEP_2) | instskip(SKIP_1) | instid1(VALU_DEP_3)
	v_div_fixup_f32 v2, v2, v1, 1.0
	v_mov_b32_e32 v1, v0
	v_add3_u32 v9, 0, 8, v9
	s_delay_alu instid0(VALU_DEP_3)
	v_mov_b32_e32 v3, v2
	s_branch .LBB3_67
.LBB3_65:                               ;   in Loop: Header=BB3_67 Depth=2
	s_or_b32 exec_lo, exec_lo, s41
	s_delay_alu instid0(SALU_CYCLE_1)
	s_and_not1_b32 s33, s33, exec_lo
	s_and_b32 s41, s42, exec_lo
	s_and_not1_b32 s31, s31, exec_lo
	s_and_b32 s40, s40, exec_lo
	s_or_b32 s33, s33, s41
	s_and_not1_b32 s30, s30, exec_lo
	s_or_b32 s29, s29, exec_lo
	s_or_b32 s31, s31, s40
.LBB3_66:                               ;   in Loop: Header=BB3_67 Depth=2
	s_or_b32 exec_lo, exec_lo, s39
	s_xor_b32 s39, s33, -1
	s_and_b32 s40, exec_lo, s31
	s_delay_alu instid0(SALU_CYCLE_1)
	s_or_b32 s27, s40, s27
	s_and_not1_b32 s18, s18, exec_lo
	s_and_b32 s40, s30, exec_lo
	s_and_not1_b32 s19, s19, exec_lo
	s_or_b32 s18, s18, s40
	s_and_b32 s40, s29, exec_lo
	s_and_not1_b32 s28, s28, exec_lo
	s_and_b32 s39, s39, exec_lo
	s_or_b32 s19, s19, s40
	s_or_b32 s28, s28, s39
	s_and_not1_b32 exec_lo, exec_lo, s27
	s_cbranch_execz .LBB3_71
.LBB3_67:                               ;   Parent Loop BB3_55 Depth=1
                                        ; =>  This Inner Loop Header: Depth=2
	s_or_b32 s33, s33, exec_lo
	s_or_b32 s30, s30, exec_lo
	s_and_not1_b32 s29, s29, exec_lo
	s_or_b32 s31, s31, exec_lo
	s_mov_b32 s39, exec_lo
	v_cmpx_lt_i32_e32 -1, v8
	s_cbranch_execz .LBB3_66
; %bb.68:                               ;   in Loop: Header=BB3_67 Depth=2
	s_mov_b32 s40, -1
	s_mov_b32 s42, -1
	s_mov_b32 s41, exec_lo
	v_cmpx_le_u32_e64 s13, v8
	s_cbranch_execz .LBB3_65
; %bb.69:                               ;   in Loop: Header=BB3_67 Depth=2
	ds_load_2addr_b32 v[10:11], v9 offset1:1
	s_xor_b32 s42, exec_lo, -1
	v_add_nc_u32_e32 v8, s6, v8
	s_delay_alu instid0(VALU_DEP_1) | instskip(SKIP_4) | instid1(VALU_DEP_2)
	v_cmp_le_i32_e32 vcc_lo, s25, v8
	s_or_not1_b32 s40, vcc_lo, exec_lo
	s_wait_dscnt 0x0
	v_pk_fma_f32 v[12:13], v[0:1], v[10:11], v[10:11] op_sel:[0,1,0] op_sel_hi:[1,0,1] neg_lo:[1,0,0] neg_hi:[1,0,0]
	v_pk_fma_f32 v[10:11], v[0:1], v[10:11], v[10:11] op_sel:[0,1,0] op_sel_hi:[1,0,1]
	v_mov_b32_e32 v11, v13
	s_delay_alu instid0(VALU_DEP_1)
	v_pk_mul_f32 v[10:11], v[2:3], v[10:11]
	ds_store_2addr_b32 v9, v10, v11 offset1:1
	v_add_nc_u32_e32 v9, s9, v9
	s_branch .LBB3_65
.LBB3_70:                               ;   in Loop: Header=BB3_55 Depth=1
                                        ; implicit-def: $sgpr18
                                        ; implicit-def: $sgpr19
                                        ; implicit-def: $sgpr27
	s_mov_b32 s1, -1
	s_and_saveexec_b32 s16, s15
	s_cbranch_execz .LBB3_54
	s_branch .LBB3_88
.LBB3_71:                               ;   in Loop: Header=BB3_55 Depth=1
	s_or_b32 exec_lo, exec_lo, s27
	s_delay_alu instid0(SALU_CYCLE_1)
	s_or_not1_b32 s29, s28, exec_lo
.LBB3_72:                               ;   in Loop: Header=BB3_55 Depth=1
	s_or_b32 exec_lo, exec_lo, s20
	s_mov_b32 s27, 0
	s_and_saveexec_b32 s20, s29
	s_delay_alu instid0(SALU_CYCLE_1)
	s_xor_b32 s20, exec_lo, s20
	s_cbranch_execz .LBB3_87
; %bb.73:                               ;   in Loop: Header=BB3_55 Depth=1
	v_add_nc_u32_e32 v8, s1, v45
	s_mov_b32 s28, -1
	s_mov_b32 s27, exec_lo
	s_wait_dscnt 0x0
	s_barrier_signal -1
	s_barrier_wait -1
	v_cmpx_gt_i32_e64 s25, v8
	s_cbranch_execz .LBB3_84
; %bb.74:                               ;   in Loop: Header=BB3_55 Depth=1
	v_dual_mov_b32 v10, v6 :: v_dual_add_nc_u32 v9, s1, v44
	s_mov_b32 s28, 0
                                        ; implicit-def: $sgpr29
                                        ; implicit-def: $sgpr31
                                        ; implicit-def: $sgpr30
	s_delay_alu instid0(VALU_DEP_1)
	v_cmp_gt_i32_e32 vcc_lo, s25, v9
	s_branch .LBB3_77
.LBB3_75:                               ;   in Loop: Header=BB3_77 Depth=2
	s_or_b32 exec_lo, exec_lo, s39
	v_add_nc_u32_e32 v8, s24, v8
	v_subrev_nc_u32_e32 v10, s11, v10
	s_and_not1_b32 s31, s31, exec_lo
	s_and_not1_b32 s30, s30, exec_lo
	s_delay_alu instid0(VALU_DEP_2) | instskip(SKIP_1) | instid1(SALU_CYCLE_1)
	v_cmp_le_i32_e64 s1, s25, v8
	s_and_b32 s1, s1, exec_lo
	s_or_b32 s31, s31, s1
.LBB3_76:                               ;   in Loop: Header=BB3_77 Depth=2
	s_or_b32 exec_lo, exec_lo, s33
	s_xor_b32 s1, s30, -1
	s_and_b32 s33, exec_lo, s31
	s_delay_alu instid0(SALU_CYCLE_1) | instskip(SKIP_2) | instid1(SALU_CYCLE_1)
	s_or_b32 s28, s33, s28
	s_and_not1_b32 s29, s29, exec_lo
	s_and_b32 s1, s1, exec_lo
	s_or_b32 s29, s29, s1
	s_and_not1_b32 exec_lo, exec_lo, s28
	s_cbranch_execz .LBB3_83
.LBB3_77:                               ;   Parent Loop BB3_55 Depth=1
                                        ; =>  This Loop Header: Depth=2
                                        ;       Child Loop BB3_81 Depth 3
	s_or_b32 s30, s30, exec_lo
	s_or_b32 s31, s31, exec_lo
	s_mov_b32 s33, exec_lo
	v_cmpx_lt_i32_e32 -1, v8
	s_cbranch_execz .LBB3_76
; %bb.78:                               ;   in Loop: Header=BB3_77 Depth=2
	s_and_saveexec_b32 s39, vcc_lo
	s_cbranch_execz .LBB3_75
; %bb.79:                               ;   in Loop: Header=BB3_77 Depth=2
	v_sub_nc_u32_e32 v1, s8, v8
	v_subrev_nc_u32_e32 v0, s13, v8
	s_mov_b32 s40, 0
	v_dual_mov_b32 v11, v5 :: v_dual_mov_b32 v13, v9
	s_delay_alu instid0(VALU_DEP_3) | instskip(NEXT) | instid1(VALU_DEP_3)
	v_mul_lo_u32 v2, v1, v8
	v_lshl_add_u32 v0, v0, 3, s17
	ds_load_2addr_b32 v[0:1], v0 offset1:1
	v_lshrrev_b32_e32 v3, 31, v2
	s_delay_alu instid0(VALU_DEP_1) | instskip(SKIP_1) | instid1(VALU_DEP_1)
	v_add_lshl_u32 v2, v2, v3, 2
	s_wait_dscnt 0x0
	v_dual_mov_b32 v2, v1 :: v_dual_bitop2_b32 v12, -8, v2 bitop3:0x40
	s_delay_alu instid0(VALU_DEP_1)
	v_dual_mov_b32 v3, v0 :: v_dual_add_nc_u32 v12, v10, v12
	s_branch .LBB3_81
.LBB3_80:                               ;   in Loop: Header=BB3_81 Depth=3
	s_or_b32 exec_lo, exec_lo, s41
	v_dual_add_nc_u32 v13, s34, v13 :: v_dual_add_nc_u32 v11, s10, v11
	s_delay_alu instid0(VALU_DEP_1) | instskip(SKIP_1) | instid1(SALU_CYCLE_1)
	v_cmp_le_i32_e64 s1, s25, v13
	s_or_b32 s40, s1, s40
	s_and_not1_b32 exec_lo, exec_lo, s40
	s_cbranch_execz .LBB3_75
.LBB3_81:                               ;   Parent Loop BB3_55 Depth=1
                                        ;     Parent Loop BB3_77 Depth=2
                                        ; =>    This Inner Loop Header: Depth=3
	s_mov_b32 s41, exec_lo
	v_cmpx_ge_i32_e64 v13, v8
	s_cbranch_execz .LBB3_80
; %bb.82:                               ;   in Loop: Header=BB3_81 Depth=3
	v_dual_add_nc_u32 v14, s16, v11 :: v_dual_add_nc_u32 v21, v11, v12
	ds_load_2addr_b32 v[14:15], v14 offset0:2 offset1:3
	ds_load_2addr_b32 v[16:17], v21 offset1:1
	s_wait_dscnt 0x1
	v_pk_mul_f32 v[18:19], v[0:1], v[14:15] op_sel_hi:[1,0]
	v_mov_b32_e32 v20, v15
	s_delay_alu instid0(VALU_DEP_2) | instskip(NEXT) | instid1(VALU_DEP_2)
	v_pk_fma_f32 v[14:15], v[2:3], v[14:15], v[18:19] op_sel:[0,1,0] neg_lo:[0,0,1] neg_hi:[0,0,1]
	v_pk_fma_f32 v[18:19], v[2:3], v[20:21], v[18:19]
	s_delay_alu instid0(VALU_DEP_2) | instskip(SKIP_1) | instid1(VALU_DEP_1)
	v_mov_b32_e32 v19, v15
	s_wait_dscnt 0x0
	v_pk_add_f32 v[14:15], v[16:17], v[18:19] neg_lo:[0,1] neg_hi:[0,1]
	ds_store_2addr_b32 v21, v14, v15 offset1:1
	s_branch .LBB3_80
.LBB3_83:                               ;   in Loop: Header=BB3_55 Depth=1
	s_or_b32 exec_lo, exec_lo, s28
	s_delay_alu instid0(SALU_CYCLE_1)
	s_or_not1_b32 s28, s29, exec_lo
.LBB3_84:                               ;   in Loop: Header=BB3_55 Depth=1
	s_or_b32 exec_lo, exec_lo, s27
	s_mov_b32 s1, s15
	s_and_saveexec_b32 s16, s28
	s_cbranch_execz .LBB3_86
; %bb.85:                               ;   in Loop: Header=BB3_55 Depth=1
	s_or_b32 s1, s15, exec_lo
	s_wait_dscnt 0x0
	s_barrier_signal -1
	s_barrier_wait -1
.LBB3_86:                               ;   in Loop: Header=BB3_55 Depth=1
	s_or_b32 exec_lo, exec_lo, s16
	s_delay_alu instid0(SALU_CYCLE_1)
	s_and_not1_b32 s15, s15, exec_lo
	s_and_b32 s1, s1, exec_lo
	s_mov_b32 s27, exec_lo
	s_and_not1_b32 s19, s19, exec_lo
	s_and_not1_b32 s18, s18, exec_lo
	s_or_b32 s15, s15, s1
.LBB3_87:                               ;   in Loop: Header=BB3_55 Depth=1
	s_or_b32 exec_lo, exec_lo, s20
	s_mov_b32 s1, -1
	s_and_saveexec_b32 s16, s15
	s_cbranch_execz .LBB3_54
.LBB3_88:                               ;   in Loop: Header=BB3_55 Depth=1
	s_add_co_i32 s13, s13, 1
	s_delay_alu instid0(SALU_CYCLE_1)
	s_cmp_eq_u32 s13, s25
	s_cselect_b32 s1, -1, 0
	s_xor_b32 s14, s14, -1
	s_and_not1_b32 s27, s27, exec_lo
	s_or_b32 s1, s14, s1
	s_and_not1_b32 s19, s19, exec_lo
	s_and_not1_b32 s18, s18, exec_lo
	s_or_not1_b32 s1, s1, exec_lo
	s_branch .LBB3_54
.LBB3_89:
	s_or_b32 exec_lo, exec_lo, s3
	s_mov_b32 s1, 0
	s_mov_b32 s28, -1
	s_mov_b32 s39, 0
	s_mov_b32 s29, 0
	s_and_saveexec_b32 s0, s12
	s_cbranch_execz .LBB3_93
; %bb.90:
	s_mov_b32 s4, -1
	s_mov_b32 s3, 0
	s_and_saveexec_b32 s5, s7
	s_delay_alu instid0(SALU_CYCLE_1)
	s_xor_b32 s5, exec_lo, s5
; %bb.91:
	s_mov_b32 s3, exec_lo
	s_xor_b32 s4, exec_lo, -1
	s_and_b32 s1, s2, exec_lo
; %bb.92:
	s_or_b32 exec_lo, exec_lo, s5
	s_delay_alu instid0(SALU_CYCLE_1)
	s_xor_b32 s28, exec_lo, -1
	s_and_b32 s29, s4, exec_lo
	s_and_b32 s39, s3, exec_lo
	;; [unrolled: 1-line block ×3, first 2 shown]
.LBB3_93:
	s_or_b32 exec_lo, exec_lo, s0
	s_mov_b32 s27, s35
	s_and_saveexec_b32 s40, s1
	s_cbranch_execnz .LBB3_95
	s_branch .LBB3_101
.LBB3_94:
	s_mov_b32 s1, -1
	s_mov_b32 s39, 0
	s_mov_b32 s29, 0
	;; [unrolled: 1-line block ×4, first 2 shown]
	s_and_saveexec_b32 s40, s1
	s_cbranch_execz .LBB3_101
.LBB3_95:
	s_mov_b32 s1, -1
	s_mov_b32 s41, 0
	s_and_b32 vcc_lo, exec_lo, s38
	s_mov_b32 s0, 0
	s_mov_b32 s42, s35
	s_wait_storecnt_dscnt 0x0
	s_barrier_signal -1
	s_barrier_wait -1
	s_cbranch_vccnz .LBB3_119
; %bb.96:
	s_and_b32 vcc_lo, exec_lo, s1
	s_cbranch_vccnz .LBB3_146
.LBB3_97:
	s_and_saveexec_b32 s1, s0
	s_cbranch_execnz .LBB3_159
.LBB3_98:
	s_or_b32 exec_lo, exec_lo, s1
	s_and_saveexec_b32 s0, s41
	s_delay_alu instid0(SALU_CYCLE_1)
	s_xor_b32 s21, exec_lo, s0
	s_cbranch_execz .LBB3_100
.LBB3_99:
	s_get_pc_i64 s[0:1]
	s_add_nc_u64 s[0:1], s[0:1], .str.9@rel64+4
	s_get_pc_i64 s[2:3]
	s_add_nc_u64 s[2:3], s[2:3], __PRETTY_FUNCTION__._ZN9rocsolver6v33100L9idx_lowerIiEET_S2_S2_S2_@rel64+4
	v_dual_mov_b32 v0, s0 :: v_dual_mov_b32 v1, s1
	v_dual_mov_b32 v2, 0x50 :: v_dual_mov_b32 v3, s2
	v_mov_b32_e32 v4, s3
	s_add_nc_u64 s[8:9], s[22:23], 48
	s_get_pc_i64 s[4:5]
	s_add_nc_u64 s[4:5], s[4:5], __assert_fail@rel64+4
	s_delay_alu instid0(SALU_CYCLE_1)
	s_swap_pc_i64 s[30:31], s[4:5]
	s_or_b32 s42, s42, exec_lo
.LBB3_100:
	s_or_b32 exec_lo, exec_lo, s21
	s_delay_alu instid0(SALU_CYCLE_1)
	s_and_not1_b32 s0, s35, exec_lo
	s_and_b32 s1, s42, exec_lo
	s_and_not1_b32 s39, s39, exec_lo
	s_or_b32 s27, s0, s1
.LBB3_101:
	s_or_b32 exec_lo, exec_lo, s40
	s_and_saveexec_b32 s0, s39
	s_delay_alu instid0(SALU_CYCLE_1)
	s_xor_b32 s21, exec_lo, s0
	s_cbranch_execnz .LBB3_117
; %bb.102:
	s_or_b32 exec_lo, exec_lo, s21
	s_and_saveexec_b32 s0, s29
	s_delay_alu instid0(SALU_CYCLE_1)
	s_xor_b32 s21, exec_lo, s0
	s_cbranch_execnz .LBB3_118
.LBB3_103:
	s_or_b32 exec_lo, exec_lo, s21
	s_and_saveexec_b32 s0, s28
	s_delay_alu instid0(SALU_CYCLE_1)
	s_xor_b32 s21, exec_lo, s0
	s_cbranch_execz .LBB3_105
.LBB3_104:
	s_get_pc_i64 s[0:1]
	s_add_nc_u64 s[0:1], s[0:1], .str.8@rel64+4
	s_get_pc_i64 s[2:3]
	s_add_nc_u64 s[2:3], s[2:3], __PRETTY_FUNCTION__._ZN9rocsolver6v33100L9idx_lowerIiEET_S2_S2_S2_@rel64+4
	v_dual_mov_b32 v0, s0 :: v_dual_mov_b32 v1, s1
	v_dual_mov_b32 v2, 0x4f :: v_dual_mov_b32 v3, s2
	v_mov_b32_e32 v4, s3
	s_add_nc_u64 s[8:9], s[22:23], 48
	s_get_pc_i64 s[4:5]
	s_add_nc_u64 s[4:5], s[4:5], __assert_fail@rel64+4
	s_delay_alu instid0(SALU_CYCLE_1)
	s_swap_pc_i64 s[30:31], s[4:5]
	s_or_b32 s27, s27, exec_lo
.LBB3_105:
	s_or_b32 exec_lo, exec_lo, s21
	s_delay_alu instid0(SALU_CYCLE_1)
	s_and_not1_b32 s0, s35, exec_lo
	s_and_b32 s1, s27, exec_lo
	s_and_not1_b32 s36, s36, exec_lo
	s_or_b32 s35, s0, s1
.LBB3_106:
	s_or_b32 exec_lo, exec_lo, s37
	s_and_saveexec_b32 s0, s36
	s_delay_alu instid0(SALU_CYCLE_1)
	s_xor_b32 s21, exec_lo, s0
	s_cbranch_execz .LBB3_108
; %bb.107:
	s_get_pc_i64 s[0:1]
	s_add_nc_u64 s[0:1], s[0:1], .str.9@rel64+4
	s_get_pc_i64 s[2:3]
	s_add_nc_u64 s[2:3], s[2:3], __PRETTY_FUNCTION__._ZN9rocsolver6v33100L9idx_lowerIiEET_S2_S2_S2_@rel64+4
	v_dual_mov_b32 v0, s0 :: v_dual_mov_b32 v1, s1
	v_dual_mov_b32 v2, 0x50 :: v_dual_mov_b32 v3, s2
	v_mov_b32_e32 v4, s3
	s_add_nc_u64 s[8:9], s[22:23], 48
	s_get_pc_i64 s[4:5]
	s_add_nc_u64 s[4:5], s[4:5], __assert_fail@rel64+4
	s_delay_alu instid0(SALU_CYCLE_1)
	s_swap_pc_i64 s[30:31], s[4:5]
	s_or_b32 s35, s35, exec_lo
.LBB3_108:
	s_or_b32 exec_lo, exec_lo, s21
	s_branch .LBB3_110
.LBB3_109:
	s_get_pc_i64 s[0:1]
	s_add_nc_u64 s[0:1], s[0:1], .str.4@rel64+4
	s_get_pc_i64 s[2:3]
	s_add_nc_u64 s[2:3], s[2:3], __PRETTY_FUNCTION__._ZN9rocsolver6v33100L18potf2_kernel_smallI19rocblas_complex_numIfEiiPKPS3_EEvbT0_T2_lS7_lPT1_@rel64+4
	v_dual_mov_b32 v0, s0 :: v_dual_mov_b32 v1, s1
	v_dual_mov_b32 v2, 0x131 :: v_dual_mov_b32 v3, s2
	v_mov_b32_e32 v4, s3
	s_add_nc_u64 s[8:9], s[22:23], 48
	s_get_pc_i64 s[4:5]
	s_add_nc_u64 s[4:5], s[4:5], __assert_fail@rel64+4
	s_delay_alu instid0(SALU_CYCLE_1)
	s_swap_pc_i64 s[30:31], s[4:5]
	s_or_b32 s35, s35, exec_lo
.LBB3_110:
	s_branch .LBB3_112
.LBB3_111:
	s_get_pc_i64 s[0:1]
	s_add_nc_u64 s[0:1], s[0:1], .str.3@rel64+4
	s_get_pc_i64 s[2:3]
	s_add_nc_u64 s[2:3], s[2:3], __PRETTY_FUNCTION__._ZN9rocsolver6v33100L18potf2_kernel_smallI19rocblas_complex_numIfEiiPKPS3_EEvbT0_T2_lS7_lPT1_@rel64+4
	v_dual_mov_b32 v0, s0 :: v_dual_mov_b32 v1, s1
	v_dual_mov_b32 v2, 0x12c :: v_dual_mov_b32 v3, s2
	v_mov_b32_e32 v4, s3
	s_add_nc_u64 s[8:9], s[22:23], 48
	s_get_pc_i64 s[4:5]
	s_add_nc_u64 s[4:5], s[4:5], __assert_fail@rel64+4
	s_delay_alu instid0(SALU_CYCLE_1)
	s_swap_pc_i64 s[30:31], s[4:5]
	s_or_b32 s35, s35, exec_lo
.LBB3_112:
	s_branch .LBB3_114
.LBB3_113:
	s_get_pc_i64 s[0:1]
	s_add_nc_u64 s[0:1], s[0:1], .str.2@rel64+4
	s_get_pc_i64 s[2:3]
	s_add_nc_u64 s[2:3], s[2:3], __PRETTY_FUNCTION__._ZN9rocsolver6v33100L18potf2_kernel_smallI19rocblas_complex_numIfEiiPKPS3_EEvbT0_T2_lS7_lPT1_@rel64+4
	v_dual_mov_b32 v0, s0 :: v_dual_mov_b32 v1, s1
	v_dual_mov_b32 v2, 0x12b :: v_dual_mov_b32 v3, s2
	v_mov_b32_e32 v4, s3
	s_add_nc_u64 s[8:9], s[22:23], 48
	s_get_pc_i64 s[4:5]
	s_add_nc_u64 s[4:5], s[4:5], __assert_fail@rel64+4
	s_delay_alu instid0(SALU_CYCLE_1)
	s_swap_pc_i64 s[30:31], s[4:5]
	s_or_b32 s35, s35, exec_lo
.LBB3_114:
	s_delay_alu instid0(SALU_CYCLE_1)
	s_and_saveexec_b32 s0, s35
; %bb.115:
	; divergent unreachable
; %bb.116:
	s_endpgm
.LBB3_117:
	s_get_pc_i64 s[0:1]
	s_add_nc_u64 s[0:1], s[0:1], .str.8@rel64+4
	s_get_pc_i64 s[2:3]
	s_add_nc_u64 s[2:3], s[2:3], __PRETTY_FUNCTION__._ZN9rocsolver6v33100L9idx_lowerIiEET_S2_S2_S2_@rel64+4
	v_dual_mov_b32 v0, s0 :: v_dual_mov_b32 v1, s1
	v_dual_mov_b32 v2, 0x4f :: v_dual_mov_b32 v3, s2
	v_mov_b32_e32 v4, s3
	s_add_nc_u64 s[8:9], s[22:23], 48
	s_get_pc_i64 s[4:5]
	s_add_nc_u64 s[4:5], s[4:5], __assert_fail@rel64+4
	s_delay_alu instid0(SALU_CYCLE_1) | instskip(SKIP_3) | instid1(SALU_CYCLE_1)
	s_swap_pc_i64 s[30:31], s[4:5]
	s_or_b32 s27, s27, exec_lo
	s_or_b32 exec_lo, exec_lo, s21
	s_and_saveexec_b32 s0, s29
	s_xor_b32 s21, exec_lo, s0
	s_cbranch_execz .LBB3_103
.LBB3_118:
	s_get_pc_i64 s[0:1]
	s_add_nc_u64 s[0:1], s[0:1], .str.10@rel64+4
	s_get_pc_i64 s[2:3]
	s_add_nc_u64 s[2:3], s[2:3], __PRETTY_FUNCTION__._ZN9rocsolver6v33100L9idx_lowerIiEET_S2_S2_S2_@rel64+4
	v_dual_mov_b32 v0, s0 :: v_dual_mov_b32 v1, s1
	v_dual_mov_b32 v2, 0x51 :: v_dual_mov_b32 v3, s2
	v_mov_b32_e32 v4, s3
	s_add_nc_u64 s[8:9], s[22:23], 48
	s_get_pc_i64 s[4:5]
	s_add_nc_u64 s[4:5], s[4:5], __assert_fail@rel64+4
	s_delay_alu instid0(SALU_CYCLE_1) | instskip(SKIP_3) | instid1(SALU_CYCLE_1)
	s_swap_pc_i64 s[30:31], s[4:5]
	s_or_b32 s27, s27, exec_lo
	s_or_b32 exec_lo, exec_lo, s21
	s_and_saveexec_b32 s0, s28
	s_xor_b32 s21, exec_lo, s0
	s_cbranch_execnz .LBB3_104
	s_branch .LBB3_105
.LBB3_119:
	s_mov_b32 s0, -1
	s_mov_b32 s42, s35
	s_and_saveexec_b32 s38, s21
	s_cbranch_execz .LBB3_145
; %bb.120:
	v_dual_add_nc_u32 v6, v45, v44 :: v_dual_mov_b32 v0, v45
	v_lshl_add_u32 v7, v44, 3, 0
	s_lshl_b32 s0, s25, 1
	s_ashr_i32 s27, s26, 31
	s_or_b32 s6, s0, 1
	s_mov_b32 s4, 0
	s_lshl_b32 s7, s34, 3
                                        ; implicit-def: $sgpr5
                                        ; implicit-def: $sgpr3
                                        ; implicit-def: $sgpr2
                                        ; implicit-def: $sgpr8
	s_branch .LBB3_122
.LBB3_121:                              ;   in Loop: Header=BB3_122 Depth=1
	s_or_b32 exec_lo, exec_lo, s11
	s_xor_b32 s0, s9, -1
	s_xor_b32 s9, s10, -1
	s_and_b32 s1, exec_lo, s1
	s_delay_alu instid0(SALU_CYCLE_1)
	s_or_b32 s4, s1, s4
	s_and_not1_b32 s1, s2, exec_lo
	s_and_b32 s2, s8, exec_lo
	s_and_b32 s0, s0, exec_lo
	s_or_b32 s2, s1, s2
	s_and_not1_b32 s1, s3, exec_lo
	s_and_not1_b32 s5, s5, exec_lo
	s_and_b32 s9, s9, exec_lo
	s_or_b32 s3, s1, s0
	s_or_b32 s5, s5, s9
	s_and_not1_b32 exec_lo, exec_lo, s4
	s_cbranch_execz .LBB3_134
.LBB3_122:                              ; =>This Loop Header: Depth=1
                                        ;     Child Loop BB3_127 Depth 2
	v_add_nc_u32_e32 v2, v0, v44
	s_mov_b32 s0, -1
	s_mov_b32 s11, exec_lo
                                        ; implicit-def: $sgpr10
                                        ; implicit-def: $sgpr9
                                        ; implicit-def: $sgpr12
	s_delay_alu instid0(VALU_DEP_1)
	v_cmpx_gt_i32_e64 s25, v2
	s_cbranch_execz .LBB3_132
; %bb.123:                              ;   in Loop: Header=BB3_122 Depth=1
	v_ashrrev_i32_e32 v1, 31, v0
	v_cmp_ge_u32_e64 s0, v6, v0
	s_mov_b32 s13, 0
	v_cmp_lt_i32_e32 vcc_lo, -1, v0
                                        ; implicit-def: $sgpr14
                                        ; implicit-def: $sgpr12
                                        ; implicit-def: $sgpr9
                                        ; implicit-def: $sgpr10
                                        ; implicit-def: $sgpr16
                                        ; implicit-def: $sgpr19
                                        ; implicit-def: $sgpr17
                                        ; implicit-def: $sgpr15
                                        ; implicit-def: $sgpr18
	v_mul_u64_e32 v[4:5], s[26:27], v[0:1]
	v_sub_nc_u32_e32 v1, s6, v0
	s_delay_alu instid0(VALU_DEP_1) | instskip(NEXT) | instid1(VALU_DEP_1)
	v_mul_lo_u32 v1, v1, v0
	v_lshrrev_b32_e32 v3, 31, v1
	s_delay_alu instid0(VALU_DEP_1) | instskip(NEXT) | instid1(VALU_DEP_1)
	v_add_lshl_u32 v1, v1, v3, 2
	v_and_b32_e32 v1, -8, v1
	s_delay_alu instid0(VALU_DEP_1)
	v_add_nc_u32_e32 v1, v7, v1
	v_lshl_add_u64 v[4:5], v[4:5], 3, v[42:43]
	s_branch .LBB3_127
.LBB3_124:                              ;   in Loop: Header=BB3_127 Depth=2
	s_wait_xcnt 0x0
	s_or_b32 exec_lo, exec_lo, s31
	s_delay_alu instid0(SALU_CYCLE_1)
	s_mov_b32 s1, exec_lo
	s_or_not1_b32 s42, s33, exec_lo
	s_xor_b32 s33, exec_lo, -1
	s_or_not1_b32 s31, s43, exec_lo
.LBB3_125:                              ;   in Loop: Header=BB3_127 Depth=2
	s_or_b32 exec_lo, exec_lo, s30
	s_delay_alu instid0(SALU_CYCLE_1)
	s_and_not1_b32 s18, s18, exec_lo
	s_and_b32 s30, s42, exec_lo
	s_and_not1_b32 s17, s17, exec_lo
	s_or_b32 s18, s18, s30
	s_and_b32 s30, s33, exec_lo
	s_and_not1_b32 s19, s19, exec_lo
	s_or_b32 s17, s17, s30
	s_and_b32 s1, s1, exec_lo
	s_and_not1_b32 s16, s16, exec_lo
	s_and_b32 s30, s31, exec_lo
	s_and_not1_b32 s15, s15, exec_lo
	s_or_b32 s19, s19, s1
	s_or_b32 s16, s16, s30
.LBB3_126:                              ;   in Loop: Header=BB3_127 Depth=2
	s_or_b32 exec_lo, exec_lo, s20
	s_xor_b32 s1, s18, -1
	s_and_b32 s20, exec_lo, s16
	s_delay_alu instid0(SALU_CYCLE_1)
	s_or_b32 s13, s20, s13
	s_and_not1_b32 s10, s10, exec_lo
	s_and_b32 s20, s15, exec_lo
	s_and_not1_b32 s9, s9, exec_lo
	s_and_b32 s30, s17, exec_lo
	s_or_b32 s10, s10, s20
	s_and_not1_b32 s12, s12, exec_lo
	s_and_b32 s20, s19, exec_lo
	s_and_not1_b32 s14, s14, exec_lo
	s_and_b32 s1, s1, exec_lo
	s_or_b32 s9, s9, s30
	s_or_b32 s12, s12, s20
	;; [unrolled: 1-line block ×3, first 2 shown]
	s_and_not1_b32 exec_lo, exec_lo, s13
	s_cbranch_execz .LBB3_131
.LBB3_127:                              ;   Parent Loop BB3_122 Depth=1
                                        ; =>  This Inner Loop Header: Depth=2
	s_or_b32 s18, s18, exec_lo
	s_or_b32 s15, s15, exec_lo
	s_and_not1_b32 s17, s17, exec_lo
	s_and_not1_b32 s19, s19, exec_lo
	s_or_b32 s16, s16, exec_lo
	s_mov_b32 s20, exec_lo
	v_cmpx_lt_i32_e32 -1, v2
	s_cbranch_execz .LBB3_126
; %bb.128:                              ;   in Loop: Header=BB3_127 Depth=2
	s_mov_b32 s1, 0
	s_mov_b32 s31, -1
	s_mov_b32 s33, -1
	;; [unrolled: 1-line block ×3, first 2 shown]
	s_and_saveexec_b32 s30, vcc_lo
	s_cbranch_execz .LBB3_125
; %bb.129:                              ;   in Loop: Header=BB3_127 Depth=2
	s_mov_b32 s43, -1
	s_and_saveexec_b32 s31, s0
	s_cbranch_execz .LBB3_124
; %bb.130:                              ;   in Loop: Header=BB3_127 Depth=2
	ds_load_2addr_b32 v[8:9], v1 offset1:1
	v_dual_ashrrev_i32 v3, 31, v2 :: v_dual_add_nc_u32 v1, s7, v1
	s_xor_b32 s33, exec_lo, -1
	s_delay_alu instid0(VALU_DEP_1) | instskip(SKIP_1) | instid1(VALU_DEP_1)
	v_lshl_add_u64 v[10:11], v[2:3], 3, v[4:5]
	v_add_nc_u32_e32 v2, s34, v2
	v_cmp_le_i32_e64 s1, s25, v2
	s_or_not1_b32 s43, s1, exec_lo
	s_wait_dscnt 0x0
	flat_store_b64 v[10:11], v[8:9]
	s_branch .LBB3_124
.LBB3_131:                              ;   in Loop: Header=BB3_122 Depth=1
	s_or_b32 exec_lo, exec_lo, s13
	s_delay_alu instid0(SALU_CYCLE_1)
	s_or_not1_b32 s0, s14, exec_lo
.LBB3_132:                              ;   in Loop: Header=BB3_122 Depth=1
	s_or_b32 exec_lo, exec_lo, s11
	s_delay_alu instid0(SALU_CYCLE_1)
	s_and_not1_b32 s8, s8, exec_lo
	s_and_b32 s11, s12, exec_lo
	s_mov_b32 s1, -1
	s_or_b32 s8, s8, s11
	s_and_saveexec_b32 s11, s0
	s_cbranch_execz .LBB3_121
; %bb.133:                              ;   in Loop: Header=BB3_122 Depth=1
	v_dual_add_nc_u32 v0, s24, v0 :: v_dual_add_nc_u32 v6, s24, v6
	s_and_not1_b32 s8, s8, exec_lo
	s_and_not1_b32 s9, s9, exec_lo
	;; [unrolled: 1-line block ×3, first 2 shown]
	s_delay_alu instid0(VALU_DEP_1)
	v_cmp_le_i32_e32 vcc_lo, s25, v0
	s_or_not1_b32 s1, vcc_lo, exec_lo
	s_branch .LBB3_121
.LBB3_134:
	s_or_b32 exec_lo, exec_lo, s4
	s_mov_b32 s43, 0
	s_mov_b32 s42, s35
	s_and_saveexec_b32 s0, s5
	s_delay_alu instid0(SALU_CYCLE_1)
	s_xor_b32 s27, exec_lo, s0
	s_cbranch_execz .LBB3_142
; %bb.135:
	s_mov_b32 s44, s35
	s_and_saveexec_b32 s0, s3
	s_delay_alu instid0(SALU_CYCLE_1)
	s_xor_b32 s42, exec_lo, s0
	s_cbranch_execz .LBB3_139
; %bb.136:
	s_mov_b32 s0, -1
	s_mov_b32 s1, s35
	s_and_saveexec_b32 s3, s2
	s_delay_alu instid0(SALU_CYCLE_1)
	s_xor_b32 s43, exec_lo, s3
	s_cbranch_execz .LBB3_138
; %bb.137:
	s_get_pc_i64 s[0:1]
	s_add_nc_u64 s[0:1], s[0:1], .str.10@rel64+4
	s_get_pc_i64 s[2:3]
	s_add_nc_u64 s[2:3], s[2:3], __PRETTY_FUNCTION__._ZN9rocsolver6v33100L9idx_lowerIiEET_S2_S2_S2_@rel64+4
	v_dual_mov_b32 v0, s0 :: v_dual_mov_b32 v1, s1
	v_dual_mov_b32 v2, 0x51 :: v_dual_mov_b32 v3, s2
	v_mov_b32_e32 v4, s3
	s_add_nc_u64 s[8:9], s[22:23], 48
	s_get_pc_i64 s[4:5]
	s_add_nc_u64 s[4:5], s[4:5], __assert_fail@rel64+4
	s_delay_alu instid0(SALU_CYCLE_1)
	s_swap_pc_i64 s[30:31], s[4:5]
	s_or_b32 s1, s35, exec_lo
	s_xor_b32 s0, exec_lo, -1
.LBB3_138:
	s_or_b32 exec_lo, exec_lo, s43
	s_delay_alu instid0(SALU_CYCLE_1)
	s_and_not1_b32 s2, s35, exec_lo
	s_and_b32 s1, s1, exec_lo
	s_and_b32 s43, s0, exec_lo
	s_or_b32 s44, s2, s1
.LBB3_139:
	s_and_not1_saveexec_b32 s42, s42
	s_cbranch_execz .LBB3_141
; %bb.140:
	s_get_pc_i64 s[0:1]
	s_add_nc_u64 s[0:1], s[0:1], .str.9@rel64+4
	s_get_pc_i64 s[2:3]
	s_add_nc_u64 s[2:3], s[2:3], __PRETTY_FUNCTION__._ZN9rocsolver6v33100L9idx_lowerIiEET_S2_S2_S2_@rel64+4
	v_dual_mov_b32 v0, s0 :: v_dual_mov_b32 v1, s1
	v_dual_mov_b32 v2, 0x50 :: v_dual_mov_b32 v3, s2
	v_mov_b32_e32 v4, s3
	s_add_nc_u64 s[8:9], s[22:23], 48
	s_get_pc_i64 s[4:5]
	s_add_nc_u64 s[4:5], s[4:5], __assert_fail@rel64+4
	s_delay_alu instid0(SALU_CYCLE_1)
	s_swap_pc_i64 s[30:31], s[4:5]
	s_or_b32 s44, s44, exec_lo
.LBB3_141:
	s_or_b32 exec_lo, exec_lo, s42
	s_delay_alu instid0(SALU_CYCLE_1)
	s_and_not1_b32 s0, s35, exec_lo
	s_and_b32 s1, s44, exec_lo
	s_and_b32 s43, s43, exec_lo
	s_or_b32 s42, s0, s1
.LBB3_142:
	s_and_not1_saveexec_b32 s27, s27
	s_cbranch_execz .LBB3_144
; %bb.143:
	s_get_pc_i64 s[0:1]
	s_add_nc_u64 s[0:1], s[0:1], .str.8@rel64+4
	s_get_pc_i64 s[2:3]
	s_add_nc_u64 s[2:3], s[2:3], __PRETTY_FUNCTION__._ZN9rocsolver6v33100L9idx_lowerIiEET_S2_S2_S2_@rel64+4
	v_dual_mov_b32 v0, s0 :: v_dual_mov_b32 v1, s1
	v_dual_mov_b32 v2, 0x4f :: v_dual_mov_b32 v3, s2
	v_mov_b32_e32 v4, s3
	s_add_nc_u64 s[8:9], s[22:23], 48
	s_get_pc_i64 s[4:5]
	s_add_nc_u64 s[4:5], s[4:5], __assert_fail@rel64+4
	s_delay_alu instid0(SALU_CYCLE_1)
	s_swap_pc_i64 s[30:31], s[4:5]
	s_or_b32 s42, s42, exec_lo
.LBB3_144:
	s_or_b32 exec_lo, exec_lo, s27
	s_delay_alu instid0(SALU_CYCLE_1) | instskip(SKIP_1) | instid1(SALU_CYCLE_1)
	s_and_not1_b32 s0, s35, exec_lo
	s_and_b32 s1, s42, exec_lo
	s_or_b32 s42, s0, s1
	s_or_not1_b32 s0, s43, exec_lo
.LBB3_145:
	s_or_b32 exec_lo, exec_lo, s38
	s_branch .LBB3_97
.LBB3_146:
	s_mov_b32 s0, -1
	s_mov_b32 s41, 0
	s_and_saveexec_b32 s4, s21
	s_cbranch_execz .LBB3_158
; %bb.147:
	v_dual_lshlrev_b32 v2, 3, v45 :: v_dual_lshlrev_b32 v0, 3, v44
	v_mov_b32_e32 v1, 0
	s_lshl_b32 s0, s25, 1
	s_ashr_i32 s27, s26, 31
	s_mov_b32 s1, 0
	v_sub_nc_u32_e32 v2, v2, v0
	v_add_nc_u64_e32 v[0:1], v[42:43], v[0:1]
	v_sub_nc_u32_e32 v3, s0, v44
	s_lshl_b32 s0, s34, 3
	s_lshl_b32 s5, s24, 3
	v_add_nc_u32_e32 v4, 0, v2
	s_sub_co_i32 s6, 0, s0
	v_add_nc_u32_e32 v5, 1, v3
	v_add_nc_u64_e32 v[0:1], 4, v[0:1]
	s_lshl_b64 s[2:3], s[26:27], 3
	s_mov_b32 s7, s1
                                        ; implicit-def: $sgpr8
	s_branch .LBB3_149
.LBB3_148:                              ;   in Loop: Header=BB3_149 Depth=1
	s_or_b32 exec_lo, exec_lo, s11
	s_xor_b32 s10, s10, -1
	s_and_b32 s9, exec_lo, s9
	s_delay_alu instid0(SALU_CYCLE_1) | instskip(SKIP_2) | instid1(SALU_CYCLE_1)
	s_or_b32 s7, s9, s7
	s_and_not1_b32 s8, s8, exec_lo
	s_and_b32 s9, s10, exec_lo
	s_or_b32 s8, s8, s9
	s_and_not1_b32 exec_lo, exec_lo, s7
	s_cbranch_execz .LBB3_157
.LBB3_149:                              ; =>This Loop Header: Depth=1
                                        ;     Child Loop BB3_152 Depth 2
	s_mov_b32 s12, -1
	s_mov_b32 s9, exec_lo
	v_cmpx_le_i32_e64 v44, v45
	s_cbranch_execz .LBB3_155
; %bb.150:                              ;   in Loop: Header=BB3_149 Depth=1
	v_mad_nc_u64_u32 v[2:3], s2, v45, v[0:1]
	v_dual_mov_b32 v6, v5 :: v_dual_mov_b32 v7, v4
	v_mov_b32_e32 v8, v44
	s_mov_b32 s10, 0
                                        ; implicit-def: $sgpr11
                                        ; implicit-def: $sgpr13
                                        ; implicit-def: $sgpr12
	s_delay_alu instid0(VALU_DEP_3)
	v_mad_u32 v3, s3, v45, v3
	s_branch .LBB3_152
.LBB3_151:                              ;   in Loop: Header=BB3_152 Depth=2
	s_or_b32 exec_lo, exec_lo, s14
	s_xor_b32 s14, s12, -1
	s_and_b32 s15, exec_lo, s13
	s_delay_alu instid0(SALU_CYCLE_1) | instskip(SKIP_2) | instid1(SALU_CYCLE_1)
	s_or_b32 s10, s15, s10
	s_and_not1_b32 s11, s11, exec_lo
	s_and_b32 s14, s14, exec_lo
	s_or_b32 s11, s11, s14
	s_and_not1_b32 exec_lo, exec_lo, s10
	s_cbranch_execz .LBB3_154
.LBB3_152:                              ;   Parent Loop BB3_149 Depth=1
                                        ; =>  This Inner Loop Header: Depth=2
	s_or_b32 s12, s12, exec_lo
	s_or_b32 s13, s13, exec_lo
	s_mov_b32 s14, exec_lo
	v_cmpx_lt_i32_e32 -1, v8
	s_cbranch_execz .LBB3_151
; %bb.153:                              ;   in Loop: Header=BB3_152 Depth=2
	v_mul_lo_u32 v9, v6, v8
	v_subrev_nc_u32_e32 v6, s34, v6
	s_and_not1_b32 s13, s13, exec_lo
	s_and_not1_b32 s12, s12, exec_lo
	v_add_nc_u32_e32 v8, s34, v8
	s_delay_alu instid0(VALU_DEP_1) | instskip(NEXT) | instid1(VALU_DEP_4)
	v_cmp_gt_i32_e32 vcc_lo, v8, v45
	v_lshrrev_b32_e32 v10, 31, v9
	s_and_b32 s15, vcc_lo, exec_lo
	s_delay_alu instid0(VALU_DEP_1) | instskip(SKIP_1) | instid1(VALU_DEP_1)
	v_add_lshl_u32 v9, v9, v10, 2
	s_or_b32 s13, s13, s15
	v_and_b32_e32 v9, -8, v9
	s_delay_alu instid0(VALU_DEP_1)
	v_dual_add_nc_u32 v9, v7, v9 :: v_dual_add_nc_u32 v7, s6, v7
	ds_load_2addr_b32 v[10:11], v9 offset1:1
	s_wait_dscnt 0x0
	v_xor_b32_e32 v11, 0x80000000, v11
	flat_store_b64 v[2:3], v[10:11] offset:-4
	s_wait_xcnt 0x0
	v_add_nc_u64_e32 v[2:3], s[0:1], v[2:3]
	s_branch .LBB3_151
.LBB3_154:                              ;   in Loop: Header=BB3_149 Depth=1
	s_or_b32 exec_lo, exec_lo, s10
	s_delay_alu instid0(SALU_CYCLE_1)
	s_or_not1_b32 s12, s11, exec_lo
.LBB3_155:                              ;   in Loop: Header=BB3_149 Depth=1
	s_or_b32 exec_lo, exec_lo, s9
	s_mov_b32 s9, -1
	s_mov_b32 s10, -1
	s_and_saveexec_b32 s11, s12
	s_cbranch_execz .LBB3_148
; %bb.156:                              ;   in Loop: Header=BB3_149 Depth=1
	v_dual_add_nc_u32 v45, s24, v45 :: v_dual_add_nc_u32 v4, s5, v4
	s_xor_b32 s10, exec_lo, -1
	s_delay_alu instid0(VALU_DEP_1)
	v_cmp_le_i32_e32 vcc_lo, s25, v45
	s_or_not1_b32 s9, vcc_lo, exec_lo
	s_branch .LBB3_148
.LBB3_157:
	s_or_b32 exec_lo, exec_lo, s7
	s_delay_alu instid0(SALU_CYCLE_1)
	s_mov_b32 s41, exec_lo
	s_or_not1_b32 s0, s8, exec_lo
.LBB3_158:
	s_or_b32 exec_lo, exec_lo, s4
	s_and_saveexec_b32 s1, s0
	s_cbranch_execz .LBB3_98
.LBB3_159:
	s_wait_storecnt_dscnt 0x0
	s_barrier_signal -1
	s_barrier_wait -1
	s_and_not1_b32 s41, s41, exec_lo
	s_or_b32 exec_lo, exec_lo, s1
	s_and_saveexec_b32 s0, s41
	s_delay_alu instid0(SALU_CYCLE_1)
	s_xor_b32 s21, exec_lo, s0
	s_cbranch_execnz .LBB3_99
	s_branch .LBB3_100
	.section	.rodata,"a",@progbits
	.p2align	6, 0x0
	.amdhsa_kernel _ZN9rocsolver6v33100L18potf2_kernel_smallI19rocblas_complex_numIfEiiPKPS3_EEvbT0_T2_lS7_lPT1_
		.amdhsa_group_segment_fixed_size 0
		.amdhsa_private_segment_fixed_size 64
		.amdhsa_kernarg_size 304
		.amdhsa_user_sgpr_count 2
		.amdhsa_user_sgpr_dispatch_ptr 0
		.amdhsa_user_sgpr_queue_ptr 0
		.amdhsa_user_sgpr_kernarg_segment_ptr 1
		.amdhsa_user_sgpr_dispatch_id 0
		.amdhsa_user_sgpr_kernarg_preload_length 0
		.amdhsa_user_sgpr_kernarg_preload_offset 0
		.amdhsa_user_sgpr_private_segment_size 0
		.amdhsa_wavefront_size32 1
		.amdhsa_uses_dynamic_stack 0
		.amdhsa_enable_private_segment 1
		.amdhsa_system_sgpr_workgroup_id_x 1
		.amdhsa_system_sgpr_workgroup_id_y 0
		.amdhsa_system_sgpr_workgroup_id_z 1
		.amdhsa_system_sgpr_workgroup_info 0
		.amdhsa_system_vgpr_workitem_id 2
		.amdhsa_next_free_vgpr 53
		.amdhsa_next_free_sgpr 45
		.amdhsa_named_barrier_count 0
		.amdhsa_reserve_vcc 1
		.amdhsa_float_round_mode_32 0
		.amdhsa_float_round_mode_16_64 0
		.amdhsa_float_denorm_mode_32 3
		.amdhsa_float_denorm_mode_16_64 3
		.amdhsa_fp16_overflow 0
		.amdhsa_memory_ordered 1
		.amdhsa_forward_progress 1
		.amdhsa_inst_pref_size 50
		.amdhsa_round_robin_scheduling 0
		.amdhsa_exception_fp_ieee_invalid_op 0
		.amdhsa_exception_fp_denorm_src 0
		.amdhsa_exception_fp_ieee_div_zero 0
		.amdhsa_exception_fp_ieee_overflow 0
		.amdhsa_exception_fp_ieee_underflow 0
		.amdhsa_exception_fp_ieee_inexact 0
		.amdhsa_exception_int_div_zero 0
	.end_amdhsa_kernel
	.section	.text._ZN9rocsolver6v33100L18potf2_kernel_smallI19rocblas_complex_numIfEiiPKPS3_EEvbT0_T2_lS7_lPT1_,"axG",@progbits,_ZN9rocsolver6v33100L18potf2_kernel_smallI19rocblas_complex_numIfEiiPKPS3_EEvbT0_T2_lS7_lPT1_,comdat
.Lfunc_end3:
	.size	_ZN9rocsolver6v33100L18potf2_kernel_smallI19rocblas_complex_numIfEiiPKPS3_EEvbT0_T2_lS7_lPT1_, .Lfunc_end3-_ZN9rocsolver6v33100L18potf2_kernel_smallI19rocblas_complex_numIfEiiPKPS3_EEvbT0_T2_lS7_lPT1_
                                        ; -- End function
	.set _ZN9rocsolver6v33100L18potf2_kernel_smallI19rocblas_complex_numIfEiiPKPS3_EEvbT0_T2_lS7_lPT1_.num_vgpr, max(46, .L__assert_fail.num_vgpr)
	.set _ZN9rocsolver6v33100L18potf2_kernel_smallI19rocblas_complex_numIfEiiPKPS3_EEvbT0_T2_lS7_lPT1_.num_agpr, max(0, .L__assert_fail.num_agpr)
	.set _ZN9rocsolver6v33100L18potf2_kernel_smallI19rocblas_complex_numIfEiiPKPS3_EEvbT0_T2_lS7_lPT1_.numbered_sgpr, max(45, .L__assert_fail.numbered_sgpr)
	.set _ZN9rocsolver6v33100L18potf2_kernel_smallI19rocblas_complex_numIfEiiPKPS3_EEvbT0_T2_lS7_lPT1_.num_named_barrier, max(0, .L__assert_fail.num_named_barrier)
	.set _ZN9rocsolver6v33100L18potf2_kernel_smallI19rocblas_complex_numIfEiiPKPS3_EEvbT0_T2_lS7_lPT1_.private_seg_size, 0+max(.L__assert_fail.private_seg_size)
	.set _ZN9rocsolver6v33100L18potf2_kernel_smallI19rocblas_complex_numIfEiiPKPS3_EEvbT0_T2_lS7_lPT1_.uses_vcc, or(1, .L__assert_fail.uses_vcc)
	.set _ZN9rocsolver6v33100L18potf2_kernel_smallI19rocblas_complex_numIfEiiPKPS3_EEvbT0_T2_lS7_lPT1_.uses_flat_scratch, or(0, .L__assert_fail.uses_flat_scratch)
	.set _ZN9rocsolver6v33100L18potf2_kernel_smallI19rocblas_complex_numIfEiiPKPS3_EEvbT0_T2_lS7_lPT1_.has_dyn_sized_stack, or(0, .L__assert_fail.has_dyn_sized_stack)
	.set _ZN9rocsolver6v33100L18potf2_kernel_smallI19rocblas_complex_numIfEiiPKPS3_EEvbT0_T2_lS7_lPT1_.has_recursion, or(0, .L__assert_fail.has_recursion)
	.set _ZN9rocsolver6v33100L18potf2_kernel_smallI19rocblas_complex_numIfEiiPKPS3_EEvbT0_T2_lS7_lPT1_.has_indirect_call, or(0, .L__assert_fail.has_indirect_call)
	.section	.AMDGPU.csdata,"",@progbits
; Kernel info:
; codeLenInByte = 6284
; TotalNumSgprs: 47
; NumVgprs: 53
; ScratchSize: 64
; MemoryBound: 0
; FloatMode: 240
; IeeeMode: 1
; LDSByteSize: 0 bytes/workgroup (compile time only)
; SGPRBlocks: 0
; VGPRBlocks: 3
; NumSGPRsForWavesPerEU: 47
; NumVGPRsForWavesPerEU: 53
; NamedBarCnt: 0
; Occupancy: 16
; WaveLimiterHint : 1
; COMPUTE_PGM_RSRC2:SCRATCH_EN: 1
; COMPUTE_PGM_RSRC2:USER_SGPR: 2
; COMPUTE_PGM_RSRC2:TRAP_HANDLER: 0
; COMPUTE_PGM_RSRC2:TGID_X_EN: 1
; COMPUTE_PGM_RSRC2:TGID_Y_EN: 0
; COMPUTE_PGM_RSRC2:TGID_Z_EN: 1
; COMPUTE_PGM_RSRC2:TIDIG_COMP_CNT: 2
	.section	.text._ZN9rocsolver6v33100L18potf2_kernel_smallI19rocblas_complex_numIfEllPS3_EEvbT0_T2_lS5_lPT1_,"axG",@progbits,_ZN9rocsolver6v33100L18potf2_kernel_smallI19rocblas_complex_numIfEllPS3_EEvbT0_T2_lS5_lPT1_,comdat
	.globl	_ZN9rocsolver6v33100L18potf2_kernel_smallI19rocblas_complex_numIfEllPS3_EEvbT0_T2_lS5_lPT1_ ; -- Begin function _ZN9rocsolver6v33100L18potf2_kernel_smallI19rocblas_complex_numIfEllPS3_EEvbT0_T2_lS5_lPT1_
	.p2align	8
	.type	_ZN9rocsolver6v33100L18potf2_kernel_smallI19rocblas_complex_numIfEllPS3_EEvbT0_T2_lS5_lPT1_,@function
_ZN9rocsolver6v33100L18potf2_kernel_smallI19rocblas_complex_numIfEllPS3_EEvbT0_T2_lS5_lPT1_: ; @_ZN9rocsolver6v33100L18potf2_kernel_smallI19rocblas_complex_numIfEllPS3_EEvbT0_T2_lS5_lPT1_
; %bb.0:
	s_load_b64 s[28:29], s[0:1], 0x44
	v_mov_b32_e32 v41, v0
	s_mov_b64 s[22:23], s[0:1]
	s_mov_b32 s32, 0
	s_wait_kmcnt 0x0
	s_and_b32 s0, s29, 0xffff
	s_delay_alu instid0(SALU_CYCLE_1)
	s_cmp_eq_u32 s0, 1
	s_cbranch_scc1 .LBB4_2
; %bb.1:
	s_get_pc_i64 s[0:1]
	s_add_nc_u64 s[0:1], s[0:1], .str@rel64+4
	s_get_pc_i64 s[2:3]
	s_add_nc_u64 s[2:3], s[2:3], __PRETTY_FUNCTION__._ZN9rocsolver6v33100L18potf2_kernel_smallI19rocblas_complex_numIfEllPS3_EEvbT0_T2_lS5_lPT1_@rel64+4
	v_dual_mov_b32 v0, s0 :: v_dual_mov_b32 v1, s1
	v_dual_mov_b32 v2, 0x125 :: v_dual_mov_b32 v3, s2
	v_mov_b32_e32 v4, s3
	s_add_nc_u64 s[8:9], s[22:23], 56
	s_get_pc_i64 s[4:5]
	s_add_nc_u64 s[4:5], s[4:5], __assert_fail@rel64+4
	s_delay_alu instid0(SALU_CYCLE_1)
	s_swap_pc_i64 s[30:31], s[4:5]
	s_mov_b32 s46, -1
	s_cbranch_execz .LBB4_3
	s_branch .LBB4_106
.LBB4_2:
	s_mov_b32 s46, 0
.LBB4_3:
	s_load_b256 s[36:43], s[22:23], 0x8
	s_wait_kmcnt 0x0
	s_cmp_lg_u64 s[38:39], 0
	s_cbranch_scc0 .LBB4_9
; %bb.4:
	s_load_b128 s[24:27], s[22:23], 0x28
	s_wait_kmcnt 0x0
	s_cmp_lg_u64 s[26:27], 0
	s_cbranch_scc0 .LBB4_10
; %bb.5:
	s_cmp_lg_u64 s[38:39], 0
	s_cbranch_scc0 .LBB4_11
; %bb.6:
	s_load_b32 s1, s[22:23], 0x0
	s_bfe_u32 s3, ttmp6, 0x40014
	s_lshr_b32 s2, ttmp7, 16
	s_add_co_i32 s3, s3, 1
	s_bfe_u32 s4, ttmp6, 0x40008
	s_mul_i32 s3, s2, s3
	s_getreg_b32 s5, hwreg(HW_REG_IB_STS2, 6, 4)
	v_bfe_u32 v44, v41, 10, 10
	v_mov_b32_e32 v45, 0
	s_add_co_i32 s4, s4, s3
	s_cmp_eq_u32 s5, 0
	v_and_b32_e32 v42, 0x3ff, v41
	s_cselect_b32 s44, s2, s4
	v_cmp_gt_i64_e64 s21, s[36:37], v[44:45]
	s_mov_b32 s45, 0
	s_mov_b32 s0, -1
	s_mul_u64 s[34:35], s[24:25], s[44:45]
	s_wait_storecnt 0x0
	s_barrier_signal -1
	s_barrier_wait -1
	s_wait_kmcnt 0x0
	s_bitcmp1_b32 s1, 0
	s_cselect_b32 s1, -1, 0
	s_lshr_b32 s24, s28, 16
	s_xor_b32 s48, s1, -1
	s_and_b32 s28, s28, 0xffff
	s_and_b32 vcc_lo, exec_lo, s48
	s_cbranch_vccnz .LBB4_12
; %bb.7:
	s_and_b32 vcc_lo, exec_lo, s0
	s_cbranch_vccnz .LBB4_27
.LBB4_8:
	s_and_saveexec_b32 s47, s45
	s_cbranch_execnz .LBB4_34
	s_branch .LBB4_100
.LBB4_9:
	s_cbranch_execnz .LBB4_105
	s_branch .LBB4_106
.LBB4_10:
	s_cbranch_execnz .LBB4_103
	s_branch .LBB4_104
.LBB4_11:
	s_cbranch_execnz .LBB4_101
	s_branch .LBB4_102
.LBB4_12:
	s_mov_b32 s45, -1
	s_and_saveexec_b32 s47, s21
	s_cbranch_execz .LBB4_26
; %bb.13:
	v_mul_u64_e32 v[0:1], s[42:43], v[44:45]
	v_mov_b32_e32 v43, 0
	s_lshl_b64 s[0:1], s[34:35], 3
	s_lshl_b64 s[2:3], s[40:41], 3
	v_add_lshl_u32 v2, v44, v42, 3
	s_add_nc_u64 s[0:1], s[2:3], s[0:1]
	v_mov_b32_e32 v3, v43
	v_mov_b64_e32 v[4:5], v[44:45]
	s_mov_b32 s29, 0
	s_lshl_b32 s6, s28, 3
	s_mov_b32 s25, s29
	s_mov_b32 s7, s29
	s_mov_b32 s8, s29
                                        ; implicit-def: $sgpr9
	v_lshl_add_u64 v[0:1], v[0:1], 3, s[0:1]
	s_lshl_b64 s[0:1], s[36:37], 1
	s_delay_alu instid0(SALU_CYCLE_1) | instskip(SKIP_1) | instid1(VALU_DEP_1)
	s_or_b64 s[2:3], s[0:1], 1
	s_lshl_b64 s[0:1], s[42:43], 3
	v_add_nc_u64_e32 v[2:3], v[0:1], v[2:3]
	v_dual_mov_b32 v1, v43 :: v_dual_add_nc_u32 v0, v44, v42
	s_add_nc_u64 s[0:1], s[0:1], 8
	s_delay_alu instid0(SALU_CYCLE_1) | instskip(NEXT) | instid1(VALU_DEP_2)
	s_mul_u64 s[4:5], s[0:1], s[24:25]
                                        ; implicit-def: $sgpr1
	v_add_nc_u64_e32 v[2:3], s[38:39], v[2:3]
	s_branch .LBB4_15
.LBB4_14:                               ;   in Loop: Header=BB4_15 Depth=1
	s_or_b32 exec_lo, exec_lo, s10
	s_delay_alu instid0(SALU_CYCLE_1) | instskip(NEXT) | instid1(SALU_CYCLE_1)
	s_and_b32 s0, exec_lo, s0
	s_or_b32 s8, s0, s8
	s_and_not1_b32 s0, s1, exec_lo
	s_and_b32 s1, s9, exec_lo
	s_delay_alu instid0(SALU_CYCLE_1)
	s_or_b32 s1, s0, s1
	s_and_not1_b32 exec_lo, exec_lo, s8
	s_cbranch_execz .LBB4_23
.LBB4_15:                               ; =>This Loop Header: Depth=1
                                        ;     Child Loop BB4_18 Depth 2
	v_add_nc_u64_e32 v[6:7], v[4:5], v[42:43]
	s_mov_b32 s11, -1
	s_mov_b32 s10, exec_lo
	s_delay_alu instid0(VALU_DEP_1)
	v_cmpx_gt_i64_e64 s[36:37], v[6:7]
	s_cbranch_execz .LBB4_21
; %bb.16:                               ;   in Loop: Header=BB4_15 Depth=1
	v_sub_nc_u64_e32 v[8:9], s[2:3], v[4:5]
	s_mov_b32 s11, 0
	v_cmp_ge_u64_e32 vcc_lo, v[0:1], v[4:5]
                                        ; implicit-def: $sgpr12
                                        ; implicit-def: $sgpr14
                                        ; implicit-def: $sgpr13
	s_delay_alu instid0(VALU_DEP_2) | instskip(NEXT) | instid1(VALU_DEP_1)
	v_mul_u64_e32 v[8:9], v[8:9], v[4:5]
	v_lshrrev_b32_e32 v9, 31, v9
	s_delay_alu instid0(VALU_DEP_1) | instskip(NEXT) | instid1(VALU_DEP_1)
	v_add_nc_u32_e32 v8, v8, v9
	v_lshrrev_b32_e32 v8, 1, v8
	s_delay_alu instid0(VALU_DEP_1) | instskip(NEXT) | instid1(VALU_DEP_1)
	v_add_nc_u32_e32 v8, v42, v8
	v_lshl_add_u32 v10, v8, 3, 0
	v_mov_b64_e32 v[8:9], v[2:3]
	s_branch .LBB4_18
.LBB4_17:                               ;   in Loop: Header=BB4_18 Depth=2
	s_or_b32 exec_lo, exec_lo, s15
	s_xor_b32 s0, s13, -1
	s_and_b32 s15, exec_lo, s14
	s_delay_alu instid0(SALU_CYCLE_1) | instskip(SKIP_2) | instid1(SALU_CYCLE_1)
	s_or_b32 s11, s15, s11
	s_and_not1_b32 s12, s12, exec_lo
	s_and_b32 s0, s0, exec_lo
	s_or_b32 s12, s12, s0
	s_and_not1_b32 exec_lo, exec_lo, s11
	s_cbranch_execz .LBB4_20
.LBB4_18:                               ;   Parent Loop BB4_15 Depth=1
                                        ; =>  This Inner Loop Header: Depth=2
	s_or_b32 s13, s13, exec_lo
	s_or_b32 s14, s14, exec_lo
	s_and_saveexec_b32 s15, vcc_lo
	s_cbranch_execz .LBB4_17
; %bb.19:                               ;   in Loop: Header=BB4_18 Depth=2
	global_load_b64 v[12:13], v[8:9], off
	v_add_nc_u64_e32 v[6:7], s[28:29], v[6:7]
	s_wait_xcnt 0x0
	v_add_nc_u64_e32 v[8:9], s[6:7], v[8:9]
	s_and_not1_b32 s14, s14, exec_lo
	s_and_not1_b32 s13, s13, exec_lo
	s_delay_alu instid0(VALU_DEP_2) | instskip(SKIP_1) | instid1(SALU_CYCLE_1)
	v_cmp_le_i64_e64 s0, s[36:37], v[6:7]
	s_and_b32 s0, s0, exec_lo
	s_or_b32 s14, s14, s0
	s_wait_loadcnt 0x0
	ds_store_2addr_b32 v10, v12, v13 offset1:1
	v_add_nc_u32_e32 v10, s6, v10
	s_branch .LBB4_17
.LBB4_20:                               ;   in Loop: Header=BB4_15 Depth=1
	s_or_b32 exec_lo, exec_lo, s11
	s_delay_alu instid0(SALU_CYCLE_1)
	s_or_not1_b32 s11, s12, exec_lo
.LBB4_21:                               ;   in Loop: Header=BB4_15 Depth=1
	s_or_b32 exec_lo, exec_lo, s10
	s_mov_b32 s0, -1
	s_or_b32 s9, s9, exec_lo
	s_and_saveexec_b32 s10, s11
	s_cbranch_execz .LBB4_14
; %bb.22:                               ;   in Loop: Header=BB4_15 Depth=1
	v_add_nc_u64_e32 v[4:5], s[24:25], v[4:5]
	v_add_nc_u64_e32 v[0:1], s[24:25], v[0:1]
	;; [unrolled: 1-line block ×3, first 2 shown]
	s_and_not1_b32 s9, s9, exec_lo
	s_delay_alu instid0(VALU_DEP_3)
	v_cmp_le_i64_e32 vcc_lo, s[36:37], v[4:5]
	s_or_not1_b32 s0, vcc_lo, exec_lo
	s_branch .LBB4_14
.LBB4_23:
	s_or_b32 exec_lo, exec_lo, s8
	s_mov_b32 s0, -1
	s_mov_b32 s2, s46
	s_and_saveexec_b32 s3, s1
	s_delay_alu instid0(SALU_CYCLE_1)
	s_xor_b32 s25, exec_lo, s3
	s_cbranch_execz .LBB4_25
; %bb.24:
	s_get_pc_i64 s[0:1]
	s_add_nc_u64 s[0:1], s[0:1], .str.10@rel64+4
	s_get_pc_i64 s[2:3]
	s_add_nc_u64 s[2:3], s[2:3], __PRETTY_FUNCTION__._ZN9rocsolver6v33100L9idx_lowerIlEET_S2_S2_S2_@rel64+4
	v_dual_mov_b32 v0, s0 :: v_dual_mov_b32 v1, s1
	v_dual_mov_b32 v2, 0x51 :: v_dual_mov_b32 v3, s2
	v_mov_b32_e32 v4, s3
	s_add_nc_u64 s[8:9], s[22:23], 56
	s_get_pc_i64 s[4:5]
	s_add_nc_u64 s[4:5], s[4:5], __assert_fail@rel64+4
	s_delay_alu instid0(SALU_CYCLE_1)
	s_swap_pc_i64 s[30:31], s[4:5]
	s_or_b32 s2, s46, exec_lo
	s_xor_b32 s0, exec_lo, -1
.LBB4_25:
	s_or_b32 exec_lo, exec_lo, s25
	s_delay_alu instid0(SALU_CYCLE_1)
	s_and_not1_b32 s1, s46, exec_lo
	s_and_b32 s2, s2, exec_lo
	s_or_not1_b32 s45, s0, exec_lo
	s_or_b32 s46, s1, s2
.LBB4_26:
	s_or_b32 exec_lo, exec_lo, s47
	s_branch .LBB4_8
.LBB4_27:
	s_and_saveexec_b32 s4, s21
	s_cbranch_execz .LBB4_33
; %bb.28:
	v_mul_u64_e32 v[0:1], s[42:43], v[44:45]
	v_dual_mov_b32 v43, 0 :: v_dual_lshlrev_b32 v2, 3, v42
	s_lshl_b64 s[0:1], s[34:35], 3
	s_lshl_b64 s[2:3], s[40:41], 3
	s_delay_alu instid0(VALU_DEP_1)
	v_dual_mov_b32 v3, v43 :: v_dual_sub_nc_u32 v12, v44, v42
	s_add_nc_u64 s[0:1], s[2:3], s[0:1]
	s_mov_b32 s29, 0
	s_lshl_b32 s2, s28, 3
	s_mov_b32 s25, s29
	s_mov_b32 s3, s29
	;; [unrolled: 1-line block ×3, first 2 shown]
	s_delay_alu instid0(VALU_DEP_3) | instskip(SKIP_1) | instid1(VALU_DEP_1)
	v_lshl_add_u64 v[0:1], v[0:1], 3, s[0:1]
	s_lshl_b64 s[0:1], s[36:37], 1
	v_add_nc_u64_e32 v[0:1], v[0:1], v[2:3]
	v_sub_nc_u64_e32 v[2:3], s[0:1], v[42:43]
	s_mul_u64 s[0:1], s[42:43], s[24:25]
	s_delay_alu instid0(SALU_CYCLE_1) | instskip(NEXT) | instid1(VALU_DEP_2)
	s_lshl_b64 s[0:1], s[0:1], 3
	v_add_nc_u64_e32 v[4:5], s[38:39], v[0:1]
	s_delay_alu instid0(VALU_DEP_2) | instskip(NEXT) | instid1(VALU_DEP_2)
	v_add_nc_u64_e32 v[0:1], 1, v[2:3]
	v_add_nc_u64_e32 v[2:3], 4, v[4:5]
	v_mov_b64_e32 v[4:5], v[44:45]
	s_branch .LBB4_30
.LBB4_29:                               ;   in Loop: Header=BB4_30 Depth=1
	s_or_b32 exec_lo, exec_lo, s6
	v_add_nc_u64_e32 v[4:5], s[24:25], v[4:5]
	v_add_nc_u64_e32 v[2:3], s[0:1], v[2:3]
	v_add_nc_u32_e32 v12, s24, v12
	s_delay_alu instid0(VALU_DEP_3) | instskip(SKIP_1) | instid1(SALU_CYCLE_1)
	v_cmp_le_i64_e32 vcc_lo, s[36:37], v[4:5]
	s_or_b32 s5, vcc_lo, s5
	s_and_not1_b32 exec_lo, exec_lo, s5
	s_cbranch_execz .LBB4_33
.LBB4_30:                               ; =>This Loop Header: Depth=1
                                        ;     Child Loop BB4_32 Depth 2
	s_mov_b32 s6, exec_lo
	s_delay_alu instid0(VALU_DEP_1)
	v_cmpx_ge_u64_e64 v[4:5], v[42:43]
	s_cbranch_execz .LBB4_29
; %bb.31:                               ;   in Loop: Header=BB4_30 Depth=1
	s_delay_alu instid0(VALU_DEP_3)
	v_mov_b64_e32 v[6:7], v[2:3]
	v_mov_b64_e32 v[8:9], v[0:1]
	;; [unrolled: 1-line block ×3, first 2 shown]
	v_mov_b32_e32 v13, v12
	s_mov_b32 s7, 0
.LBB4_32:                               ;   Parent Loop BB4_30 Depth=1
                                        ; =>  This Inner Loop Header: Depth=2
	global_load_b64 v[14:15], v[6:7], off offset:-4
	v_mul_u64_e32 v[16:17], v[8:9], v[10:11]
	v_add_nc_u64_e32 v[10:11], s[28:29], v[10:11]
	v_sub_nc_u64_e64 v[8:9], v[8:9], s[28:29]
	s_wait_xcnt 0x0
	v_add_nc_u64_e32 v[6:7], s[2:3], v[6:7]
	s_delay_alu instid0(VALU_DEP_3) | instskip(SKIP_2) | instid1(VALU_DEP_1)
	v_cmp_gt_u64_e32 vcc_lo, v[10:11], v[4:5]
	s_or_b32 s7, vcc_lo, s7
	v_lshrrev_b32_e32 v17, 31, v17
	v_add_nc_u32_e32 v16, v16, v17
	s_delay_alu instid0(VALU_DEP_1) | instskip(NEXT) | instid1(VALU_DEP_1)
	v_lshrrev_b32_e32 v16, 1, v16
	v_add_nc_u32_e32 v16, v13, v16
	v_subrev_nc_u32_e32 v13, s28, v13
	s_delay_alu instid0(VALU_DEP_2)
	v_lshl_add_u32 v16, v16, 3, 0
	s_wait_loadcnt 0x0
	v_xor_b32_e32 v15, 0x80000000, v15
	ds_store_2addr_b32 v16, v14, v15 offset1:1
	s_and_not1_b32 exec_lo, exec_lo, s7
	s_cbranch_execnz .LBB4_32
	s_branch .LBB4_29
.LBB4_33:
	s_or_b32 exec_lo, exec_lo, s4
	s_mov_b32 s45, -1
	s_delay_alu instid0(SALU_CYCLE_1)
	s_and_saveexec_b32 s47, s45
	s_cbranch_execz .LBB4_100
.LBB4_34:
	v_cmp_lt_i64_e64 s0, s[36:37], 1
	s_wait_storecnt_dscnt 0x0
	s_barrier_signal -1
	s_barrier_wait -1
	s_and_b32 vcc_lo, exec_lo, s0
	s_cbranch_vccnz .LBB4_59
; %bb.35:
	v_mad_u32_u24 v0, v44, s28, v42
	v_bfe_u32 v1, v41, 20, 10
	s_mul_i32 s2, s24, s28
	s_lshl_b64 s[0:1], s[36:37], 1
	s_lshl_b32 s4, s44, 3
	s_or_b64 s[8:9], s[0:1], 1
	v_mad_u32 v0, s2, v1, v0
	v_dual_mov_b32 v1, 0 :: v_dual_sub_nc_u32 v12, v42, v44
	s_mov_b32 s5, 0
	s_lshl_b32 s20, s2, 3
	s_add_nc_u64 s[6:7], s[26:27], s[4:5]
	s_delay_alu instid0(VALU_DEP_1) | instskip(SKIP_4) | instid1(VALU_DEP_3)
	v_mov_b32_e32 v43, v1
	s_mov_b32 s3, s5
	s_mov_b32 s29, s5
	;; [unrolled: 1-line block ×3, first 2 shown]
	s_lshl_b32 s26, s28, 3
	v_cmp_eq_u32_e64 s0, 0, v0
	s_mov_b64 s[14:15], 0
	s_mov_b64 s[10:11], 0
	s_branch .LBB4_37
.LBB4_36:                               ;   in Loop: Header=BB4_37 Depth=1
	s_and_not1_b32 vcc_lo, exec_lo, s1
	s_mov_b64 s[10:11], s[12:13]
	s_cbranch_vccz .LBB4_59
.LBB4_37:                               ; =>This Loop Header: Depth=1
                                        ;     Child Loop BB4_48 Depth 2
                                        ;     Child Loop BB4_52 Depth 2
                                        ;       Child Loop BB4_55 Depth 3
	s_add_nc_u64 s[12:13], s[14:15], s[8:9]
	s_mov_b32 s19, -1
	s_mul_u64 s[12:13], s[12:13], s[10:11]
	s_delay_alu instid0(SALU_CYCLE_1) | instskip(NEXT) | instid1(SALU_CYCLE_1)
	s_lshr_b32 s4, s13, 31
	s_add_nc_u64 s[12:13], s[12:13], s[4:5]
	s_delay_alu instid0(SALU_CYCLE_1) | instskip(SKIP_2) | instid1(SALU_CYCLE_1)
	s_ashr_i64 s[16:17], s[12:13], 1
	s_add_nc_u64 s[12:13], s[10:11], 1
	s_lshl_b32 s1, s16, 3
	s_add_co_i32 s1, s1, 0
	s_delay_alu instid0(SALU_CYCLE_1)
	v_mov_b32_e32 v2, s1
	ds_load_b32 v2, v2
	s_wait_dscnt 0x0
	v_cmp_class_f32_e64 s4, v2, 0x180
	v_readfirstlane_b32 s18, v2
	s_and_b32 vcc_lo, exec_lo, s4
	s_cbranch_vccz .LBB4_40
; %bb.38:                               ;   in Loop: Header=BB4_37 Depth=1
	s_and_not1_b32 vcc_lo, exec_lo, s19
	s_cbranch_vccz .LBB4_44
.LBB4_39:                               ;   in Loop: Header=BB4_37 Depth=1
	s_and_b32 vcc_lo, exec_lo, s4
	s_mov_b32 s1, -1
                                        ; implicit-def: $sgpr14_sgpr15
	s_cbranch_vccz .LBB4_36
	s_branch .LBB4_58
.LBB4_40:                               ;   in Loop: Header=BB4_37 Depth=1
	s_and_saveexec_b32 s19, s0
	s_cbranch_execz .LBB4_43
; %bb.41:                               ;   in Loop: Header=BB4_37 Depth=1
	global_load_b64 v[2:3], v1, s[6:7]
	s_wait_loadcnt 0x0
	v_cmp_ne_u64_e32 vcc_lo, 0, v[2:3]
	v_mov_b32_e32 v2, s1
	ds_store_b32 v2, v1 offset:4
	s_cbranch_vccnz .LBB4_43
; %bb.42:                               ;   in Loop: Header=BB4_37 Depth=1
	s_add_nc_u64 s[30:31], s[10:11], 1
	s_delay_alu instid0(SALU_CYCLE_1)
	v_mov_b64_e32 v[2:3], s[30:31]
	global_store_b64 v1, v[2:3], s[6:7]
.LBB4_43:                               ;   in Loop: Header=BB4_37 Depth=1
	s_wait_xcnt 0x0
	s_or_b32 exec_lo, exec_lo, s19
	s_cbranch_execnz .LBB4_39
.LBB4_44:                               ;   in Loop: Header=BB4_37 Depth=1
	s_mul_f32 s19, s18, 0x4f800000
	s_cmp_lt_f32 s18, 0xf800000
	s_delay_alu instid0(SALU_CYCLE_2) | instskip(NEXT) | instid1(SALU_CYCLE_1)
	s_cselect_b32 s19, s19, s18
	v_s_sqrt_f32 s27, s19
	s_mov_b32 s31, s19
	s_delay_alu instid0(TRANS32_DEP_1) | instskip(NEXT) | instid1(SALU_CYCLE_1)
	s_add_co_i32 s30, s27, -1
	s_xor_b32 s33, s30, 0x80000000
	s_delay_alu instid0(SALU_CYCLE_1) | instskip(SKIP_1) | instid1(SALU_CYCLE_2)
	s_fmac_f32 s31, s33, s27
	s_mov_b32 s33, s19
	s_cmp_le_f32 s31, 0
	s_cselect_b32 s30, s30, s27
	s_add_co_i32 s31, s27, 1
	s_delay_alu instid0(SALU_CYCLE_1) | instskip(NEXT) | instid1(SALU_CYCLE_1)
	s_xor_b32 s44, s31, 0x80000000
	s_fmac_f32 s33, s44, s27
	s_delay_alu instid0(SALU_CYCLE_3) | instskip(SKIP_4) | instid1(SALU_CYCLE_2)
	s_cmp_gt_f32 s33, 0
	s_cselect_b32 s27, s31, s30
	s_cmp_lt_f32 s18, 0xf800000
	s_mul_f32 s18, s27, 0x37800000
	v_cmp_class_f32_e64 s30, s19, 0x260
	s_cselect_b32 s18, s18, s27
	s_and_b32 s27, s30, exec_lo
	s_cselect_b32 s27, s19, s18
	s_and_saveexec_b32 s18, s0
; %bb.45:                               ;   in Loop: Header=BB4_37 Depth=1
	v_dual_mov_b32 v2, s1 :: v_dual_mov_b32 v3, s27
	ds_store_2addr_b32 v2, v3, v1 offset1:1
; %bb.46:                               ;   in Loop: Header=BB4_37 Depth=1
	s_or_b32 exec_lo, exec_lo, s18
	s_add_nc_u64 s[18:19], s[10:11], 1
	s_mov_b32 s1, exec_lo
	v_add_nc_u64_e32 v[2:3], s[18:19], v[0:1]
	s_wait_storecnt_dscnt 0x0
	s_barrier_signal -1
	s_barrier_wait -1
	s_delay_alu instid0(VALU_DEP_1)
	v_cmpx_gt_i64_e64 s[36:37], v[2:3]
	s_cbranch_execz .LBB4_49
; %bb.47:                               ;   in Loop: Header=BB4_37 Depth=1
	v_div_scale_f32 v4, null, s27, s27, 0
	v_div_scale_f32 v7, vcc_lo, 0, s27, 0
	s_delay_alu instid0(VALU_DEP_2)
	v_rcp_f32_e32 v5, v4
	v_nop
	v_xor_b32_e32 v4, 0x80000000, v4
	s_delay_alu instid0(TRANS32_DEP_1) | instid1(VALU_DEP_1)
	v_fma_f32 v6, v4, v5, 1.0
	s_delay_alu instid0(VALU_DEP_1) | instskip(NEXT) | instid1(VALU_DEP_1)
	v_fmac_f32_e32 v5, v6, v5
	v_mul_f32_e32 v6, v7, v5
	s_delay_alu instid0(VALU_DEP_1) | instskip(NEXT) | instid1(VALU_DEP_1)
	v_fma_f32 v8, v4, v6, v7
	v_fmac_f32_e32 v6, v8, v5
	s_delay_alu instid0(VALU_DEP_1) | instskip(NEXT) | instid1(VALU_DEP_1)
	v_fmac_f32_e32 v7, v4, v6
	v_div_fmas_f32 v4, v7, v5, v6
	s_delay_alu instid0(VALU_DEP_1) | instskip(NEXT) | instid1(VALU_DEP_1)
	v_div_fixup_f32 v4, v4, s27, 0
	v_fma_f32 v5, v4, 0, s27
	s_mov_b32 s27, 0
	s_delay_alu instid0(VALU_DEP_1) | instskip(SKIP_1) | instid1(VALU_DEP_2)
	v_div_scale_f32 v6, null, v5, v5, 1.0
	v_div_scale_f32 v9, vcc_lo, 1.0, v5, 1.0
	v_rcp_f32_e32 v7, v6
	v_nop
	v_xor_b32_e32 v6, 0x80000000, v6
	s_delay_alu instid0(TRANS32_DEP_1) | instid1(VALU_DEP_1)
	v_fma_f32 v8, v6, v7, 1.0
	s_delay_alu instid0(VALU_DEP_1) | instskip(NEXT) | instid1(VALU_DEP_1)
	v_fmac_f32_e32 v7, v8, v7
	v_mul_f32_e32 v8, v9, v7
	s_delay_alu instid0(VALU_DEP_1) | instskip(NEXT) | instid1(VALU_DEP_1)
	v_fma_f32 v10, v6, v8, v9
	v_fmac_f32_e32 v8, v10, v7
	s_delay_alu instid0(VALU_DEP_1) | instskip(NEXT) | instid1(VALU_DEP_1)
	v_fmac_f32_e32 v9, v6, v8
	v_div_fmas_f32 v6, v9, v7, v8
	v_add_lshl_u32 v8, v0, s16, 3
	s_delay_alu instid0(VALU_DEP_2) | instskip(SKIP_1) | instid1(VALU_DEP_3)
	v_div_fixup_f32 v6, v6, v5, 1.0
	v_mov_b32_e32 v5, v4
	v_add3_u32 v8, 0, 8, v8
	s_delay_alu instid0(VALU_DEP_3)
	v_mov_b32_e32 v7, v6
.LBB4_48:                               ;   Parent Loop BB4_37 Depth=1
                                        ; =>  This Inner Loop Header: Depth=2
	ds_load_2addr_b32 v[10:11], v8 offset1:1
	v_add_nc_u64_e32 v[2:3], s[2:3], v[2:3]
	s_delay_alu instid0(VALU_DEP_1) | instskip(SKIP_4) | instid1(VALU_DEP_2)
	v_cmp_le_i64_e32 vcc_lo, s[36:37], v[2:3]
	s_or_b32 s27, vcc_lo, s27
	s_wait_dscnt 0x0
	v_pk_fma_f32 v[14:15], v[4:5], v[10:11], v[10:11] op_sel:[0,1,0] op_sel_hi:[1,0,1] neg_lo:[1,0,0] neg_hi:[1,0,0]
	v_pk_fma_f32 v[10:11], v[4:5], v[10:11], v[10:11] op_sel:[0,1,0] op_sel_hi:[1,0,1]
	v_mov_b32_e32 v11, v15
	s_delay_alu instid0(VALU_DEP_1)
	v_pk_mul_f32 v[10:11], v[6:7], v[10:11]
	ds_store_2addr_b32 v8, v10, v11 offset1:1
	v_add_nc_u32_e32 v8, s20, v8
	s_and_not1_b32 exec_lo, exec_lo, s27
	s_cbranch_execnz .LBB4_48
.LBB4_49:                               ;   in Loop: Header=BB4_37 Depth=1
	s_or_b32 exec_lo, exec_lo, s1
	v_add_nc_u64_e32 v[2:3], s[18:19], v[44:45]
	s_mov_b32 s27, exec_lo
	s_wait_dscnt 0x0
	s_barrier_signal -1
	s_barrier_wait -1
	s_delay_alu instid0(VALU_DEP_1)
	v_cmpx_gt_i64_e64 s[36:37], v[2:3]
	s_cbranch_execz .LBB4_57
; %bb.50:                               ;   in Loop: Header=BB4_37 Depth=1
	v_add_nc_u64_e32 v[4:5], s[18:19], v[42:43]
	v_add_lshl_u32 v13, v42, s16, 3
	v_mov_b32_e32 v14, v12
	s_add_nc_u64 s[14:15], s[16:17], s[14:15]
	s_mov_b32 s15, 0
	s_delay_alu instid0(VALU_DEP_3)
	v_cmp_gt_i64_e32 vcc_lo, s[36:37], v[4:5]
	s_branch .LBB4_52
.LBB4_51:                               ;   in Loop: Header=BB4_52 Depth=2
	s_or_b32 exec_lo, exec_lo, s16
	v_add_nc_u64_e32 v[2:3], s[24:25], v[2:3]
	v_subrev_nc_u32_e32 v14, s24, v14
	s_delay_alu instid0(VALU_DEP_2) | instskip(SKIP_1) | instid1(SALU_CYCLE_1)
	v_cmp_le_i64_e64 s1, s[36:37], v[2:3]
	s_or_b32 s15, s1, s15
	s_and_not1_b32 exec_lo, exec_lo, s15
	s_cbranch_execz .LBB4_57
.LBB4_52:                               ;   Parent Loop BB4_37 Depth=1
                                        ; =>  This Loop Header: Depth=2
                                        ;       Child Loop BB4_55 Depth 3
	s_and_saveexec_b32 s16, vcc_lo
	s_cbranch_execz .LBB4_51
; %bb.53:                               ;   in Loop: Header=BB4_52 Depth=2
	v_sub_nc_u64_e32 v[6:7], s[8:9], v[2:3]
	s_mov_b32 s17, 0
	s_mov_b32 s18, 0
	s_delay_alu instid0(VALU_DEP_1) | instskip(NEXT) | instid1(VALU_DEP_1)
	v_mul_u64_e32 v[8:9], v[6:7], v[2:3]
	v_dual_add_nc_u32 v6, s14, v2 :: v_dual_lshrrev_b32 v9, 31, v9
	s_delay_alu instid0(VALU_DEP_1) | instskip(SKIP_3) | instid1(VALU_DEP_1)
	v_lshl_add_u32 v6, v6, 3, 0
	ds_load_2addr_b32 v[6:7], v6 offset1:1
	s_wait_dscnt 0x0
	v_dual_mov_b32 v9, v6 :: v_dual_add_nc_u32 v8, v8, v9
	v_dual_lshrrev_b32 v10, 1, v8 :: v_dual_mov_b32 v8, v7
	s_delay_alu instid0(VALU_DEP_1)
	v_add_lshl_u32 v15, v14, v10, 3
	v_mov_b64_e32 v[10:11], v[4:5]
	s_branch .LBB4_55
.LBB4_54:                               ;   in Loop: Header=BB4_55 Depth=3
	s_or_b32 exec_lo, exec_lo, s19
	v_add_nc_u64_e32 v[10:11], s[28:29], v[10:11]
	s_add_co_i32 s18, s18, s26
	s_delay_alu instid0(VALU_DEP_1) | instskip(SKIP_1) | instid1(SALU_CYCLE_1)
	v_cmp_le_i64_e64 s1, s[36:37], v[10:11]
	s_or_b32 s17, s1, s17
	s_and_not1_b32 exec_lo, exec_lo, s17
	s_cbranch_execz .LBB4_51
.LBB4_55:                               ;   Parent Loop BB4_37 Depth=1
                                        ;     Parent Loop BB4_52 Depth=2
                                        ; =>    This Inner Loop Header: Depth=3
	s_mov_b32 s19, exec_lo
	s_delay_alu instid0(VALU_DEP_1)
	v_cmpx_ge_u64_e64 v[10:11], v[2:3]
	s_cbranch_execz .LBB4_54
; %bb.56:                               ;   in Loop: Header=BB4_55 Depth=3
	v_dual_add_nc_u32 v16, s18, v13 :: v_dual_add_nc_u32 v23, s18, v15
	ds_load_2addr_b32 v[16:17], v16 offset0:2 offset1:3
	ds_load_2addr_b32 v[18:19], v23 offset1:1
	s_wait_dscnt 0x1
	v_pk_mul_f32 v[20:21], v[6:7], v[16:17] op_sel_hi:[1,0]
	v_mov_b32_e32 v22, v17
	s_delay_alu instid0(VALU_DEP_2) | instskip(NEXT) | instid1(VALU_DEP_2)
	v_pk_fma_f32 v[16:17], v[8:9], v[16:17], v[20:21] op_sel:[0,1,0] neg_lo:[0,0,1] neg_hi:[0,0,1]
	v_pk_fma_f32 v[20:21], v[8:9], v[22:23], v[20:21]
	s_delay_alu instid0(VALU_DEP_2) | instskip(SKIP_1) | instid1(VALU_DEP_1)
	v_mov_b32_e32 v21, v17
	s_wait_dscnt 0x0
	v_pk_add_f32 v[16:17], v[18:19], v[20:21] neg_lo:[0,1] neg_hi:[0,1]
	ds_store_2addr_b32 v23, v16, v17 offset1:1
	s_branch .LBB4_54
.LBB4_57:                               ;   in Loop: Header=BB4_37 Depth=1
	s_or_b32 exec_lo, exec_lo, s27
	s_wait_dscnt 0x0
	s_barrier_signal -1
	s_barrier_wait -1
	s_and_b32 vcc_lo, exec_lo, s4
	s_mov_b32 s1, -1
                                        ; implicit-def: $sgpr14_sgpr15
	s_cbranch_vccz .LBB4_36
.LBB4_58:                               ;   in Loop: Header=BB4_37 Depth=1
	s_not_b64 s[14:15], s[10:11]
	s_cmp_eq_u64 s[12:13], s[36:37]
	s_cselect_b32 s1, -1, 0
	s_branch .LBB4_36
.LBB4_59:
	s_and_not1_b32 vcc_lo, exec_lo, s48
	s_wait_storecnt_dscnt 0x0
	s_barrier_signal -1
	s_barrier_wait -1
	s_cbranch_vccnz .LBB4_71
; %bb.60:
	s_mov_b32 s0, -1
	s_mov_b32 s20, s46
	s_and_saveexec_b32 s26, s21
	s_cbranch_execz .LBB4_75
; %bb.61:
	v_mul_u64_e32 v[0:1], s[42:43], v[44:45]
	v_mov_b32_e32 v43, 0
	s_lshl_b64 s[0:1], s[34:35], 3
	s_lshl_b64 s[2:3], s[40:41], 3
	v_add_lshl_u32 v2, v44, v42, 3
	s_add_nc_u64 s[0:1], s[2:3], s[0:1]
	v_mov_b32_e32 v3, v43
	v_mov_b64_e32 v[4:5], v[44:45]
	s_mov_b32 s29, 0
	s_lshl_b32 s6, s28, 3
	s_mov_b32 s25, s29
	s_mov_b32 s7, s29
	;; [unrolled: 1-line block ×3, first 2 shown]
                                        ; implicit-def: $sgpr9
	v_lshl_add_u64 v[0:1], v[0:1], 3, s[0:1]
	s_lshl_b64 s[0:1], s[36:37], 1
	s_delay_alu instid0(SALU_CYCLE_1) | instskip(SKIP_1) | instid1(VALU_DEP_1)
	s_or_b64 s[2:3], s[0:1], 1
	s_lshl_b64 s[0:1], s[42:43], 3
	v_add_nc_u64_e32 v[2:3], v[0:1], v[2:3]
	v_dual_mov_b32 v1, v43 :: v_dual_add_nc_u32 v0, v44, v42
	s_add_nc_u64 s[0:1], s[0:1], 8
	s_delay_alu instid0(SALU_CYCLE_1) | instskip(NEXT) | instid1(VALU_DEP_2)
	s_mul_u64 s[4:5], s[0:1], s[24:25]
                                        ; implicit-def: $sgpr1
	v_add_nc_u64_e32 v[2:3], s[38:39], v[2:3]
	s_branch .LBB4_63
.LBB4_62:                               ;   in Loop: Header=BB4_63 Depth=1
	s_or_b32 exec_lo, exec_lo, s10
	s_delay_alu instid0(SALU_CYCLE_1) | instskip(NEXT) | instid1(SALU_CYCLE_1)
	s_and_b32 s0, exec_lo, s0
	s_or_b32 s8, s0, s8
	s_and_not1_b32 s0, s1, exec_lo
	s_and_b32 s1, s9, exec_lo
	s_delay_alu instid0(SALU_CYCLE_1)
	s_or_b32 s1, s0, s1
	s_and_not1_b32 exec_lo, exec_lo, s8
	s_cbranch_execz .LBB4_72
.LBB4_63:                               ; =>This Loop Header: Depth=1
                                        ;     Child Loop BB4_66 Depth 2
	v_add_nc_u64_e32 v[6:7], v[4:5], v[42:43]
	s_mov_b32 s11, -1
	s_mov_b32 s10, exec_lo
	s_delay_alu instid0(VALU_DEP_1)
	v_cmpx_gt_i64_e64 s[36:37], v[6:7]
	s_cbranch_execz .LBB4_69
; %bb.64:                               ;   in Loop: Header=BB4_63 Depth=1
	v_sub_nc_u64_e32 v[8:9], s[2:3], v[4:5]
	s_mov_b32 s11, 0
	v_cmp_ge_u64_e32 vcc_lo, v[0:1], v[4:5]
                                        ; implicit-def: $sgpr12
                                        ; implicit-def: $sgpr14
                                        ; implicit-def: $sgpr13
	s_delay_alu instid0(VALU_DEP_2) | instskip(NEXT) | instid1(VALU_DEP_1)
	v_mul_u64_e32 v[8:9], v[8:9], v[4:5]
	v_lshrrev_b32_e32 v9, 31, v9
	s_delay_alu instid0(VALU_DEP_1) | instskip(NEXT) | instid1(VALU_DEP_1)
	v_add_nc_u32_e32 v8, v8, v9
	v_lshrrev_b32_e32 v8, 1, v8
	s_delay_alu instid0(VALU_DEP_1) | instskip(NEXT) | instid1(VALU_DEP_1)
	v_add_nc_u32_e32 v8, v42, v8
	v_lshl_add_u32 v10, v8, 3, 0
	v_mov_b64_e32 v[8:9], v[2:3]
	s_branch .LBB4_66
.LBB4_65:                               ;   in Loop: Header=BB4_66 Depth=2
	s_or_b32 exec_lo, exec_lo, s15
	s_xor_b32 s0, s13, -1
	s_and_b32 s15, exec_lo, s14
	s_delay_alu instid0(SALU_CYCLE_1) | instskip(SKIP_2) | instid1(SALU_CYCLE_1)
	s_or_b32 s11, s15, s11
	s_and_not1_b32 s12, s12, exec_lo
	s_and_b32 s0, s0, exec_lo
	s_or_b32 s12, s12, s0
	s_and_not1_b32 exec_lo, exec_lo, s11
	s_cbranch_execz .LBB4_68
.LBB4_66:                               ;   Parent Loop BB4_63 Depth=1
                                        ; =>  This Inner Loop Header: Depth=2
	s_or_b32 s13, s13, exec_lo
	s_or_b32 s14, s14, exec_lo
	s_and_saveexec_b32 s15, vcc_lo
	s_cbranch_execz .LBB4_65
; %bb.67:                               ;   in Loop: Header=BB4_66 Depth=2
	ds_load_2addr_b32 v[12:13], v10 offset1:1
	v_add_nc_u64_e32 v[6:7], s[28:29], v[6:7]
	v_add_nc_u32_e32 v10, s6, v10
	s_and_not1_b32 s14, s14, exec_lo
	s_and_not1_b32 s13, s13, exec_lo
	s_delay_alu instid0(VALU_DEP_2) | instskip(SKIP_1) | instid1(SALU_CYCLE_1)
	v_cmp_le_i64_e64 s0, s[36:37], v[6:7]
	s_and_b32 s0, s0, exec_lo
	s_or_b32 s14, s14, s0
	s_wait_dscnt 0x0
	global_store_b64 v[8:9], v[12:13], off
	s_wait_xcnt 0x0
	v_add_nc_u64_e32 v[8:9], s[6:7], v[8:9]
	s_branch .LBB4_65
.LBB4_68:                               ;   in Loop: Header=BB4_63 Depth=1
	s_or_b32 exec_lo, exec_lo, s11
	s_delay_alu instid0(SALU_CYCLE_1)
	s_or_not1_b32 s11, s12, exec_lo
.LBB4_69:                               ;   in Loop: Header=BB4_63 Depth=1
	s_or_b32 exec_lo, exec_lo, s10
	s_mov_b32 s0, -1
	s_or_b32 s9, s9, exec_lo
	s_and_saveexec_b32 s10, s11
	s_cbranch_execz .LBB4_62
; %bb.70:                               ;   in Loop: Header=BB4_63 Depth=1
	v_add_nc_u64_e32 v[4:5], s[24:25], v[4:5]
	v_add_nc_u64_e32 v[0:1], s[24:25], v[0:1]
	;; [unrolled: 1-line block ×3, first 2 shown]
	s_and_not1_b32 s9, s9, exec_lo
	s_delay_alu instid0(VALU_DEP_3)
	v_cmp_le_i64_e32 vcc_lo, s[36:37], v[4:5]
	s_or_not1_b32 s0, vcc_lo, exec_lo
	s_branch .LBB4_62
.LBB4_71:
	s_mov_b32 s1, -1
	s_mov_b32 s0, 0
	s_mov_b32 s20, s46
	s_branch .LBB4_76
.LBB4_72:
	s_or_b32 exec_lo, exec_lo, s8
	s_mov_b32 s0, -1
	s_mov_b32 s2, s46
	s_and_saveexec_b32 s3, s1
	s_delay_alu instid0(SALU_CYCLE_1)
	s_xor_b32 s25, exec_lo, s3
	s_cbranch_execz .LBB4_74
; %bb.73:
	s_get_pc_i64 s[0:1]
	s_add_nc_u64 s[0:1], s[0:1], .str.10@rel64+4
	s_get_pc_i64 s[2:3]
	s_add_nc_u64 s[2:3], s[2:3], __PRETTY_FUNCTION__._ZN9rocsolver6v33100L9idx_lowerIlEET_S2_S2_S2_@rel64+4
	v_dual_mov_b32 v0, s0 :: v_dual_mov_b32 v1, s1
	v_dual_mov_b32 v2, 0x51 :: v_dual_mov_b32 v3, s2
	v_mov_b32_e32 v4, s3
	s_add_nc_u64 s[8:9], s[22:23], 56
	s_get_pc_i64 s[4:5]
	s_add_nc_u64 s[4:5], s[4:5], __assert_fail@rel64+4
	s_delay_alu instid0(SALU_CYCLE_1)
	s_swap_pc_i64 s[30:31], s[4:5]
	s_or_b32 s2, s46, exec_lo
	s_xor_b32 s0, exec_lo, -1
.LBB4_74:
	s_or_b32 exec_lo, exec_lo, s25
	s_delay_alu instid0(SALU_CYCLE_1)
	s_and_not1_b32 s1, s46, exec_lo
	s_and_b32 s2, s2, exec_lo
	s_or_not1_b32 s0, s0, exec_lo
	s_or_b32 s20, s1, s2
.LBB4_75:
	s_or_b32 exec_lo, exec_lo, s26
	s_mov_b32 s1, 0
.LBB4_76:
	s_delay_alu instid0(SALU_CYCLE_1)
	s_and_b32 vcc_lo, exec_lo, s1
	s_cbranch_vccz .LBB4_97
; %bb.77:
	s_and_saveexec_b32 s26, s21
	s_cbranch_execz .LBB4_96
; %bb.78:
	v_mul_u64_e32 v[2:3], s[42:43], v[44:45]
	s_mov_b32 s1, 0
	s_cvt_f32_u32 s6, s28
	s_mov_b32 s25, s1
	s_lshl_b64 s[4:5], s[36:37], 1
	s_mul_u64 s[12:13], s[42:43], s[24:25]
	s_mov_b32 s0, 0x4f800000
	s_or_b64 s[4:5], s[4:5], 1
	s_lshl_b64 s[12:13], s[12:13], 3
	s_fmamk_f32 s0, s0, 0x0, s6
	s_cmp_lg_u32 s28, 1
	v_dual_mov_b32 v10, 0 :: v_dual_add_nc_u32 v12, s28, v42
	s_cselect_b32 s21, -1, 0
	s_lshl_b64 s[16:17], s[34:35], 3
	s_lshl_b64 s[18:19], s[40:41], 3
	v_s_rcp_f32 s0, s0
	s_add_nc_u64 s[16:17], s[18:19], s[16:17]
	v_dual_mov_b32 v0, v42 :: v_dual_lshlrev_b32 v18, 3, v42
	v_dual_mov_b32 v43, v10 :: v_dual_mov_b32 v19, v10
	s_add_nc_u64 s[14:15], s[40:41], s[34:35]
	v_dual_add_nc_u32 v14, 1, v44 :: v_dual_add_nc_u32 v16, 1, v42
	s_delay_alu instid0(TRANS32_DEP_1) | instskip(SKIP_2) | instid1(SALU_CYCLE_1)
	s_mul_f32 s0, s0, 0x5f7ffffc
	v_dual_mov_b32 v13, v10 :: v_dual_mov_b32 v15, v10
	v_sub_nc_u64_e32 v[20:21], 0, v[42:43]
	s_mul_f32 s6, s0, 0x2f800000
	v_dual_mov_b32 v17, v10 :: v_dual_mov_b32 v1, v10
	v_lshl_add_u64 v[4:5], v[2:3], 3, s[16:17]
	v_add_nc_u64_e32 v[6:7], s[14:15], v[2:3]
	s_trunc_f32 s19, s6
	v_mov_b64_e32 v[28:29], v[14:15]
	v_dual_mov_b32 v2, v16 :: v_dual_mov_b32 v3, v10
	v_add_nc_u64_e32 v[8:9], v[4:5], v[18:19]
	s_fmamk_f32 s0, s19, 0xcf800000, s0
	s_delay_alu instid0(VALU_DEP_4)
	v_add_nc_u64_e32 v[6:7], v[6:7], v[42:43]
	v_add_nc_u64_e32 v[22:23], s[38:39], v[4:5]
	s_mov_b32 s29, s1
	s_cvt_u32_f32 s18, s0
	s_cvt_u32_f32 s19, s19
	v_add_nc_u64_e32 v[8:9], s[38:39], v[8:9]
	s_mov_b64 s[2:3], 0
	v_lshl_add_u64 v[24:25], v[6:7], 3, s[38:39]
	s_mov_b32 s7, s1
	s_mov_b32 s8, s4
	;; [unrolled: 1-line block ×3, first 2 shown]
	s_sub_nc_u64 s[10:11], 0, s[28:29]
	v_add_nc_u64_e32 v[26:27], 12, v[8:9]
	s_lshl_b32 s6, s28, 3
	s_mov_b64 s[14:15], 0xffffffff
	s_mov_b64 s[16:17], 0x1fffffffffffffff
	s_sub_co_i32 s27, 0, s28
	s_mov_b32 s30, 0
	s_branch .LBB4_80
.LBB4_79:                               ;   in Loop: Header=BB4_80 Depth=1
	s_or_b32 exec_lo, exec_lo, s31
	v_add_nc_u64_e32 v[44:45], s[24:25], v[44:45]
	v_add_nc_u64_e32 v[28:29], s[24:25], v[28:29]
	v_add_nc_u64_e32 v[26:27], s[12:13], v[26:27]
	v_add_nc_u64_e32 v[22:23], s[12:13], v[22:23]
	s_add_nc_u64 s[2:3], s[2:3], 1
	s_delay_alu instid0(VALU_DEP_4) | instskip(SKIP_1) | instid1(SALU_CYCLE_1)
	v_cmp_le_i64_e32 vcc_lo, s[36:37], v[44:45]
	s_or_b32 s30, vcc_lo, s30
	s_and_not1_b32 exec_lo, exec_lo, s30
	s_cbranch_execz .LBB4_96
.LBB4_80:                               ; =>This Loop Header: Depth=1
                                        ;     Child Loop BB4_88 Depth 2
                                        ;     Child Loop BB4_95 Depth 2
	s_mov_b32 s31, exec_lo
	v_cmpx_ge_u64_e64 v[44:45], v[42:43]
	s_cbranch_execz .LBB4_79
; %bb.81:                               ;   in Loop: Header=BB4_80 Depth=1
	v_mad_nc_u64_u32 v[8:9], s2, s24, v[14:15]
	v_mov_b64_e32 v[6:7], v[18:19]
	s_mov_b32 s0, -1
	s_mov_b32 s33, exec_lo
	s_delay_alu instid0(VALU_DEP_2) | instskip(NEXT) | instid1(VALU_DEP_1)
	v_mad_u32 v9, s3, s24, v9
	v_max_u64 v[4:5], v[8:9], v[16:17]
	s_delay_alu instid0(VALU_DEP_1) | instskip(SKIP_1) | instid1(VALU_DEP_2)
	v_sub_nc_u64_e32 v[30:31], v[4:5], v[42:43]
	v_mov_b64_e32 v[4:5], v[42:43]
	v_cmpx_lt_u64_e32 3, v[30:31]
	s_cbranch_execz .LBB4_93
; %bb.82:                               ;   in Loop: Header=BB4_80 Depth=1
	v_max_u64 v[4:5], v[8:9], v[12:13]
	v_cmp_gt_u64_e32 vcc_lo, v[8:9], v[12:13]
                                        ; implicit-def: $vgpr8_vgpr9
	s_mov_b32 s0, exec_lo
	s_delay_alu instid0(VALU_DEP_2) | instskip(SKIP_2) | instid1(VALU_DEP_1)
	v_sub_nc_u64_e32 v[6:7], v[4:5], v[12:13]
	v_cndmask_b32_e64 v4, 0, 1, vcc_lo
	v_mov_b32_e32 v5, s1
	v_sub_nc_u64_e32 v[6:7], v[6:7], v[4:5]
	s_delay_alu instid0(VALU_DEP_1) | instskip(NEXT) | instid1(VALU_DEP_1)
	v_mov_b32_e32 v11, v7
	v_cmpx_ne_u64_e32 0, v[10:11]
	s_xor_b32 s34, exec_lo, s0
	s_cbranch_execz .LBB4_84
; %bb.83:                               ;   in Loop: Header=BB4_80 Depth=1
	s_mul_u64 s[38:39], s[10:11], s[18:19]
	s_delay_alu instid0(VALU_DEP_3)
	v_dual_mov_b32 v8, v6 :: v_dual_mov_b32 v9, v10
	s_mul_hi_u32 s41, s18, s39
	s_mul_i32 s40, s18, s39
	s_mul_hi_u32 s0, s18, s38
	s_mul_i32 s35, s19, s38
	s_add_nc_u64 s[40:41], s[0:1], s[40:41]
	s_mul_hi_u32 s0, s19, s38
	s_mul_hi_u32 s38, s19, s39
	s_add_co_u32 s35, s40, s35
	s_add_co_ci_u32 s0, s41, s0
	s_add_co_ci_u32 s41, s38, 0
	s_mul_i32 s40, s19, s39
	v_dual_mov_b32 v32, v7 :: v_dual_mov_b32 v33, v10
	s_add_nc_u64 s[38:39], s[0:1], s[40:41]
	v_mov_b32_e32 v37, v10
	s_add_co_u32 s38, s18, s38
	s_cselect_b32 s0, -1, 0
	s_delay_alu instid0(SALU_CYCLE_1) | instskip(SKIP_1) | instid1(SALU_CYCLE_1)
	s_cmp_lg_u32 s0, 0
	s_add_co_ci_u32 s39, s19, s39
	s_mul_u64 s[40:41], s[10:11], s[38:39]
	s_delay_alu instid0(SALU_CYCLE_1)
	s_mul_hi_u32 s43, s38, s41
	s_mul_i32 s42, s38, s41
	s_mul_hi_u32 s0, s38, s40
	s_mul_hi_u32 s35, s39, s40
	s_mul_i32 s40, s39, s40
	s_add_nc_u64 s[42:43], s[0:1], s[42:43]
	s_mul_hi_u32 s44, s39, s41
	s_add_co_u32 s0, s42, s40
	s_add_co_ci_u32 s0, s43, s35
	s_mul_i32 s40, s39, s41
	s_add_co_ci_u32 s41, s44, 0
	s_delay_alu instid0(SALU_CYCLE_1) | instskip(NEXT) | instid1(SALU_CYCLE_1)
	s_add_nc_u64 s[40:41], s[0:1], s[40:41]
	s_add_co_u32 s38, s38, s40
	s_cselect_b32 s0, -1, 0
	v_mul_hi_u32 v36, v6, s38
	s_cmp_lg_u32 s0, 0
	s_add_co_ci_u32 s0, s39, s41
	s_and_b64 s[40:41], s[38:39], s[14:15]
	v_mul_u64_e32 v[8:9], s[0:1], v[8:9]
	v_mul_u64_e32 v[34:35], s[40:41], v[32:33]
	;; [unrolled: 1-line block ×3, first 2 shown]
	s_delay_alu instid0(VALU_DEP_3) | instskip(NEXT) | instid1(VALU_DEP_1)
	v_add_nc_u64_e32 v[8:9], v[36:37], v[8:9]
	v_add_co_u32 v8, vcc_lo, v8, v34
	s_delay_alu instid0(VALU_DEP_2) | instskip(NEXT) | instid1(VALU_DEP_4)
	v_add_co_ci_u32_e32 v36, vcc_lo, v9, v35, vcc_lo
	v_add_co_ci_u32_e32 v33, vcc_lo, 0, v33, vcc_lo
	s_delay_alu instid0(VALU_DEP_1) | instskip(NEXT) | instid1(VALU_DEP_1)
	v_add_nc_u64_e32 v[8:9], v[36:37], v[32:33]
	v_mul_u64_e32 v[32:33], s[28:29], v[8:9]
	s_delay_alu instid0(VALU_DEP_1) | instskip(NEXT) | instid1(VALU_DEP_1)
	v_sub_co_u32 v11, vcc_lo, v6, v32
	v_sub_co_ci_u32_e64 v34, null, v7, v33, vcc_lo
	s_delay_alu instid0(VALU_DEP_2) | instskip(NEXT) | instid1(VALU_DEP_1)
	v_sub_co_u32 v6, vcc_lo, v11, s28
	v_subrev_co_ci_u32_e64 v32, null, 0, v34, vcc_lo
	v_cmp_eq_u32_e64 s0, 0, v34
	s_delay_alu instid0(VALU_DEP_3) | instskip(SKIP_3) | instid1(VALU_DEP_2)
	v_cmp_le_u32_e32 vcc_lo, s28, v6
	v_add_nc_u64_e32 v[6:7], 2, v[8:9]
	v_cndmask_b32_e64 v33, 0, -1, vcc_lo
	v_cmp_eq_u32_e32 vcc_lo, 0, v32
	v_cndmask_b32_e32 v35, -1, v33, vcc_lo
	v_cmp_le_u32_e32 vcc_lo, s28, v11
	v_add_nc_u64_e32 v[32:33], 1, v[8:9]
	v_cndmask_b32_e64 v11, 0, -1, vcc_lo
	s_delay_alu instid0(VALU_DEP_4) | instskip(NEXT) | instid1(VALU_DEP_2)
	v_cmp_ne_u32_e32 vcc_lo, 0, v35
	v_dual_cndmask_b32 v11, -1, v11, s0 :: v_dual_cndmask_b32 v6, v32, v6, vcc_lo
	s_delay_alu instid0(VALU_DEP_4) | instskip(NEXT) | instid1(VALU_DEP_2)
	v_cndmask_b32_e32 v7, v33, v7, vcc_lo
	v_cmp_ne_u32_e32 vcc_lo, 0, v11
	s_delay_alu instid0(VALU_DEP_2)
	v_dual_cndmask_b32 v8, v8, v6 :: v_dual_cndmask_b32 v9, v9, v7
                                        ; implicit-def: $vgpr6_vgpr7
.LBB4_84:                               ;   in Loop: Header=BB4_80 Depth=1
	s_and_not1_saveexec_b32 s0, s34
	s_cbranch_execz .LBB4_86
; %bb.85:                               ;   in Loop: Header=BB4_80 Depth=1
	v_cvt_f32_u32_e32 v7, s28
	s_delay_alu instid0(VALU_DEP_1) | instskip(SKIP_1) | instid1(TRANS32_DEP_1)
	v_rcp_iflag_f32_e32 v7, v7
	v_nop
	v_mul_f32_e32 v7, 0x4f7ffffe, v7
	s_delay_alu instid0(VALU_DEP_1) | instskip(NEXT) | instid1(VALU_DEP_1)
	v_cvt_u32_f32_e32 v7, v7
	v_mul_lo_u32 v8, s27, v7
	s_delay_alu instid0(VALU_DEP_1) | instskip(NEXT) | instid1(VALU_DEP_1)
	v_mul_hi_u32 v8, v7, v8
	v_add_nc_u32_e32 v7, v7, v8
	s_delay_alu instid0(VALU_DEP_1) | instskip(NEXT) | instid1(VALU_DEP_1)
	v_mul_hi_u32 v7, v6, v7
	v_mul_lo_u32 v8, v7, s28
	s_delay_alu instid0(VALU_DEP_1) | instskip(NEXT) | instid1(VALU_DEP_1)
	v_dual_sub_nc_u32 v6, v6, v8 :: v_dual_add_nc_u32 v8, 1, v7
	v_subrev_nc_u32_e32 v9, s28, v6
	v_cmp_le_u32_e32 vcc_lo, s28, v6
	s_delay_alu instid0(VALU_DEP_2) | instskip(NEXT) | instid1(VALU_DEP_4)
	v_cndmask_b32_e32 v6, v6, v9, vcc_lo
	v_dual_mov_b32 v9, v10 :: v_dual_cndmask_b32 v7, v7, v8, vcc_lo
	s_delay_alu instid0(VALU_DEP_2) | instskip(NEXT) | instid1(VALU_DEP_2)
	v_cmp_le_u32_e32 vcc_lo, s28, v6
	v_add_nc_u32_e32 v8, 1, v7
	s_delay_alu instid0(VALU_DEP_1)
	v_cndmask_b32_e32 v8, v7, v8, vcc_lo
.LBB4_86:                               ;   in Loop: Header=BB4_80 Depth=1
	s_or_b32 exec_lo, exec_lo, s0
	v_mad_nc_u64_u32 v[6:7], s12, s2, v[24:25]
	s_mul_i32 s0, s13, s2
	s_mul_i32 s34, s12, s3
	v_add_nc_u64_e32 v[4:5], v[8:9], v[4:5]
	s_delay_alu instid0(VALU_DEP_1) | instskip(NEXT) | instid1(VALU_DEP_3)
	v_cmp_lt_u64_e32 vcc_lo, s[16:17], v[4:5]
	v_add3_u32 v7, s34, s0, v7
	s_mov_b32 s34, -1
	s_delay_alu instid0(VALU_DEP_1) | instskip(SKIP_1) | instid1(VALU_DEP_2)
	v_lshl_add_u64 v[8:9], v[4:5], 3, v[6:7]
	v_mov_b64_e32 v[4:5], v[42:43]
	v_cmp_lt_u64_e64 s0, v[8:9], v[6:7]
	v_mov_b64_e32 v[6:7], v[18:19]
	s_or_b32 s0, s0, vcc_lo
	s_delay_alu instid0(SALU_CYCLE_1) | instskip(NEXT) | instid1(SALU_CYCLE_1)
	s_nor_b32 s35, s21, s0
	s_and_saveexec_b32 s0, s35
	s_cbranch_execz .LBB4_92
; %bb.87:                               ;   in Loop: Header=BB4_80 Depth=1
	v_max_u64 v[4:5], v[28:29], v[16:17]
	v_mov_b64_e32 v[8:9], v[2:3]
	v_mov_b64_e32 v[34:35], v[26:27]
	v_mov_b64_e32 v[6:7], v[0:1]
	s_mov_b32 s34, 0
	s_delay_alu instid0(VALU_DEP_4) | instskip(NEXT) | instid1(VALU_DEP_1)
	v_add_nc_u64_e32 v[32:33], v[20:21], v[4:5]
	v_dual_mov_b32 v4, v44 :: v_dual_bitop2_b32 v32, -2, v32 bitop3:0x40
.LBB4_88:                               ;   Parent Loop BB4_80 Depth=1
                                        ; =>  This Inner Loop Header: Depth=2
	s_delay_alu instid0(VALU_DEP_3) | instskip(SKIP_1) | instid1(VALU_DEP_3)
	v_sub_nc_u64_e32 v[36:37], s[4:5], v[6:7]
	v_sub_nc_u64_e32 v[38:39], s[8:9], v[8:9]
	v_add_nc_u64_e32 v[32:33], -2, v[32:33]
	s_delay_alu instid0(VALU_DEP_3) | instskip(NEXT) | instid1(VALU_DEP_3)
	v_mul_u64_e32 v[36:37], v[36:37], v[6:7]
	v_mul_u64_e32 v[38:39], v[38:39], v[8:9]
	s_delay_alu instid0(VALU_DEP_3) | instskip(SKIP_1) | instid1(VALU_DEP_2)
	v_cmp_eq_u64_e32 vcc_lo, 0, v[32:33]
	s_or_b32 s34, vcc_lo, s34
	v_dual_lshrrev_b32 v5, 31, v37 :: v_dual_lshrrev_b32 v11, 31, v39
	v_sub_nc_u32_e32 v37, v44, v6
	v_add_nc_u64_e32 v[6:7], 2, v[6:7]
	s_delay_alu instid0(VALU_DEP_3) | instskip(NEXT) | instid1(VALU_DEP_1)
	v_dual_add_nc_u32 v11, v38, v11 :: v_dual_add_nc_u32 v5, v36, v5
	v_dual_lshrrev_b32 v11, 1, v11 :: v_dual_sub_nc_u32 v36, v4, v8
	s_delay_alu instid0(VALU_DEP_2) | instskip(SKIP_1) | instid1(VALU_DEP_2)
	v_lshrrev_b32_e32 v5, 1, v5
	v_add_nc_u64_e32 v[8:9], 2, v[8:9]
	v_dual_add_nc_u32 v11, v36, v11 :: v_dual_add_nc_u32 v5, v37, v5
	s_delay_alu instid0(VALU_DEP_1) | instskip(NEXT) | instid1(VALU_DEP_2)
	v_lshl_add_u32 v11, v11, 3, 0
	v_lshl_add_u32 v5, v5, 3, 0
	ds_load_2addr_b32 v[36:37], v5 offset1:1
	ds_load_2addr_b32 v[38:39], v11 offset1:1
	s_wait_dscnt 0x0
	v_dual_mov_b32 v40, v37 :: v_dual_mov_b32 v41, v39
	s_delay_alu instid0(VALU_DEP_1) | instskip(NEXT) | instid1(VALU_DEP_1)
	v_pk_add_f32 v[40:41], v[40:41], 0 neg_lo:[1,1] neg_hi:[1,1]
	v_dual_mov_b32 v37, v40 :: v_dual_mov_b32 v39, v41
	global_store_b128 v[34:35], v[36:39], off offset:-12
	s_wait_xcnt 0x0
	v_add_nc_u64_e32 v[34:35], 16, v[34:35]
	s_and_not1_b32 exec_lo, exec_lo, s34
	s_cbranch_execnz .LBB4_88
; %bb.89:                               ;   in Loop: Header=BB4_80 Depth=1
	s_or_b32 exec_lo, exec_lo, s34
	v_dual_mov_b32 v9, v31 :: v_dual_bitop2_b32 v8, -2, v30 bitop3:0x40
	s_mov_b32 s34, 0
	s_mov_b32 s35, exec_lo
                                        ; implicit-def: $vgpr4_vgpr5
                                        ; implicit-def: $vgpr6_vgpr7
	s_delay_alu instid0(VALU_DEP_1)
	v_cmpx_ne_u64_e64 v[30:31], v[8:9]
; %bb.90:                               ;   in Loop: Header=BB4_80 Depth=1
	v_add_nc_u64_e32 v[4:5], v[8:9], v[42:43]
	s_mov_b32 s34, exec_lo
	s_delay_alu instid0(VALU_DEP_1)
	v_lshlrev_b64_e32 v[6:7], 3, v[4:5]
; %bb.91:                               ;   in Loop: Header=BB4_80 Depth=1
	s_or_b32 exec_lo, exec_lo, s35
	s_delay_alu instid0(SALU_CYCLE_1)
	s_or_not1_b32 s34, s34, exec_lo
.LBB4_92:                               ;   in Loop: Header=BB4_80 Depth=1
	s_or_b32 exec_lo, exec_lo, s0
	s_delay_alu instid0(SALU_CYCLE_1)
	s_or_not1_b32 s0, s34, exec_lo
.LBB4_93:                               ;   in Loop: Header=BB4_80 Depth=1
	s_or_b32 exec_lo, exec_lo, s33
	s_delay_alu instid0(SALU_CYCLE_1)
	s_and_b32 exec_lo, exec_lo, s0
	s_cbranch_execz .LBB4_79
; %bb.94:                               ;   in Loop: Header=BB4_80 Depth=1
	s_delay_alu instid0(VALU_DEP_2)
	v_sub_nc_u64_e32 v[8:9], s[4:5], v[4:5]
	v_sub_nc_u32_e32 v11, v44, v4
	s_mov_b32 s0, 0
.LBB4_95:                               ;   Parent Loop BB4_80 Depth=1
                                        ; =>  This Inner Loop Header: Depth=2
	s_delay_alu instid0(VALU_DEP_2) | instskip(SKIP_4) | instid1(VALU_DEP_4)
	v_mul_u64_e32 v[30:31], v[8:9], v[4:5]
	v_add_nc_u64_e32 v[4:5], s[28:29], v[4:5]
	v_add_nc_u64_e32 v[32:33], v[22:23], v[6:7]
	v_sub_nc_u64_e64 v[8:9], v[8:9], s[28:29]
	v_add_nc_u64_e32 v[6:7], s[6:7], v[6:7]
	v_cmp_gt_u64_e32 vcc_lo, v[4:5], v[44:45]
	s_or_b32 s0, vcc_lo, s0
	v_lshrrev_b32_e32 v31, 31, v31
	s_delay_alu instid0(VALU_DEP_1) | instskip(NEXT) | instid1(VALU_DEP_1)
	v_add_nc_u32_e32 v30, v30, v31
	v_lshrrev_b32_e32 v30, 1, v30
	s_delay_alu instid0(VALU_DEP_1) | instskip(SKIP_1) | instid1(VALU_DEP_2)
	v_add_nc_u32_e32 v30, v11, v30
	v_subrev_nc_u32_e32 v11, s28, v11
	v_lshl_add_u32 v30, v30, 3, 0
	ds_load_2addr_b32 v[30:31], v30 offset1:1
	s_wait_dscnt 0x0
	v_xor_b32_e32 v31, 0x80000000, v31
	global_store_b64 v[32:33], v[30:31], off
	s_wait_xcnt 0x0
	s_and_not1_b32 exec_lo, exec_lo, s0
	s_cbranch_execnz .LBB4_95
	s_branch .LBB4_79
.LBB4_96:
	s_or_b32 exec_lo, exec_lo, s26
	s_mov_b32 s0, -1
.LBB4_97:
	s_delay_alu instid0(SALU_CYCLE_1) | instskip(NEXT) | instid1(SALU_CYCLE_1)
	s_and_saveexec_b32 s1, s0
	s_xor_b32 s0, exec_lo, s1
	s_cbranch_execz .LBB4_99
; %bb.98:
	s_wait_storecnt 0x0
	s_barrier_signal -1
	s_barrier_wait -1
.LBB4_99:
	s_or_b32 exec_lo, exec_lo, s0
	s_delay_alu instid0(SALU_CYCLE_1) | instskip(SKIP_1) | instid1(SALU_CYCLE_1)
	s_and_not1_b32 s0, s46, exec_lo
	s_and_b32 s1, s20, exec_lo
	s_or_b32 s46, s0, s1
.LBB4_100:
	s_or_b32 exec_lo, exec_lo, s47
	s_branch .LBB4_102
.LBB4_101:
	s_get_pc_i64 s[0:1]
	s_add_nc_u64 s[0:1], s[0:1], .str.4@rel64+4
	s_get_pc_i64 s[2:3]
	s_add_nc_u64 s[2:3], s[2:3], __PRETTY_FUNCTION__._ZN9rocsolver6v33100L18potf2_kernel_smallI19rocblas_complex_numIfEllPS3_EEvbT0_T2_lS5_lPT1_@rel64+4
	v_dual_mov_b32 v0, s0 :: v_dual_mov_b32 v1, s1
	v_dual_mov_b32 v2, 0x131 :: v_dual_mov_b32 v3, s2
	v_mov_b32_e32 v4, s3
	s_add_nc_u64 s[8:9], s[22:23], 56
	s_get_pc_i64 s[4:5]
	s_add_nc_u64 s[4:5], s[4:5], __assert_fail@rel64+4
	s_delay_alu instid0(SALU_CYCLE_1)
	s_swap_pc_i64 s[30:31], s[4:5]
	s_or_b32 s46, s46, exec_lo
.LBB4_102:
	s_branch .LBB4_104
.LBB4_103:
	s_get_pc_i64 s[0:1]
	s_add_nc_u64 s[0:1], s[0:1], .str.3@rel64+4
	s_get_pc_i64 s[2:3]
	s_add_nc_u64 s[2:3], s[2:3], __PRETTY_FUNCTION__._ZN9rocsolver6v33100L18potf2_kernel_smallI19rocblas_complex_numIfEllPS3_EEvbT0_T2_lS5_lPT1_@rel64+4
	v_dual_mov_b32 v0, s0 :: v_dual_mov_b32 v1, s1
	v_dual_mov_b32 v2, 0x12c :: v_dual_mov_b32 v3, s2
	v_mov_b32_e32 v4, s3
	s_add_nc_u64 s[8:9], s[22:23], 56
	s_get_pc_i64 s[4:5]
	s_add_nc_u64 s[4:5], s[4:5], __assert_fail@rel64+4
	s_delay_alu instid0(SALU_CYCLE_1)
	s_swap_pc_i64 s[30:31], s[4:5]
	s_or_b32 s46, s46, exec_lo
.LBB4_104:
	s_branch .LBB4_106
.LBB4_105:
	s_get_pc_i64 s[0:1]
	s_add_nc_u64 s[0:1], s[0:1], .str.2@rel64+4
	s_get_pc_i64 s[2:3]
	s_add_nc_u64 s[2:3], s[2:3], __PRETTY_FUNCTION__._ZN9rocsolver6v33100L18potf2_kernel_smallI19rocblas_complex_numIfEllPS3_EEvbT0_T2_lS5_lPT1_@rel64+4
	v_dual_mov_b32 v0, s0 :: v_dual_mov_b32 v1, s1
	v_dual_mov_b32 v2, 0x12b :: v_dual_mov_b32 v3, s2
	v_mov_b32_e32 v4, s3
	s_add_nc_u64 s[8:9], s[22:23], 56
	s_get_pc_i64 s[4:5]
	s_add_nc_u64 s[4:5], s[4:5], __assert_fail@rel64+4
	s_delay_alu instid0(SALU_CYCLE_1)
	s_swap_pc_i64 s[30:31], s[4:5]
	s_or_b32 s46, s46, exec_lo
.LBB4_106:
	s_delay_alu instid0(SALU_CYCLE_1)
	s_and_saveexec_b32 s0, s46
; %bb.107:
	; divergent unreachable
; %bb.108:
	s_endpgm
	.section	.rodata,"a",@progbits
	.p2align	6, 0x0
	.amdhsa_kernel _ZN9rocsolver6v33100L18potf2_kernel_smallI19rocblas_complex_numIfEllPS3_EEvbT0_T2_lS5_lPT1_
		.amdhsa_group_segment_fixed_size 0
		.amdhsa_private_segment_fixed_size 64
		.amdhsa_kernarg_size 312
		.amdhsa_user_sgpr_count 2
		.amdhsa_user_sgpr_dispatch_ptr 0
		.amdhsa_user_sgpr_queue_ptr 0
		.amdhsa_user_sgpr_kernarg_segment_ptr 1
		.amdhsa_user_sgpr_dispatch_id 0
		.amdhsa_user_sgpr_kernarg_preload_length 0
		.amdhsa_user_sgpr_kernarg_preload_offset 0
		.amdhsa_user_sgpr_private_segment_size 0
		.amdhsa_wavefront_size32 1
		.amdhsa_uses_dynamic_stack 0
		.amdhsa_enable_private_segment 1
		.amdhsa_system_sgpr_workgroup_id_x 1
		.amdhsa_system_sgpr_workgroup_id_y 0
		.amdhsa_system_sgpr_workgroup_id_z 1
		.amdhsa_system_sgpr_workgroup_info 0
		.amdhsa_system_vgpr_workitem_id 2
		.amdhsa_next_free_vgpr 53
		.amdhsa_next_free_sgpr 49
		.amdhsa_named_barrier_count 0
		.amdhsa_reserve_vcc 1
		.amdhsa_float_round_mode_32 0
		.amdhsa_float_round_mode_16_64 0
		.amdhsa_float_denorm_mode_32 3
		.amdhsa_float_denorm_mode_16_64 3
		.amdhsa_fp16_overflow 0
		.amdhsa_memory_ordered 1
		.amdhsa_forward_progress 1
		.amdhsa_inst_pref_size 41
		.amdhsa_round_robin_scheduling 0
		.amdhsa_exception_fp_ieee_invalid_op 0
		.amdhsa_exception_fp_denorm_src 0
		.amdhsa_exception_fp_ieee_div_zero 0
		.amdhsa_exception_fp_ieee_overflow 0
		.amdhsa_exception_fp_ieee_underflow 0
		.amdhsa_exception_fp_ieee_inexact 0
		.amdhsa_exception_int_div_zero 0
	.end_amdhsa_kernel
	.section	.text._ZN9rocsolver6v33100L18potf2_kernel_smallI19rocblas_complex_numIfEllPS3_EEvbT0_T2_lS5_lPT1_,"axG",@progbits,_ZN9rocsolver6v33100L18potf2_kernel_smallI19rocblas_complex_numIfEllPS3_EEvbT0_T2_lS5_lPT1_,comdat
.Lfunc_end4:
	.size	_ZN9rocsolver6v33100L18potf2_kernel_smallI19rocblas_complex_numIfEllPS3_EEvbT0_T2_lS5_lPT1_, .Lfunc_end4-_ZN9rocsolver6v33100L18potf2_kernel_smallI19rocblas_complex_numIfEllPS3_EEvbT0_T2_lS5_lPT1_
                                        ; -- End function
	.set _ZN9rocsolver6v33100L18potf2_kernel_smallI19rocblas_complex_numIfEllPS3_EEvbT0_T2_lS5_lPT1_.num_vgpr, max(46, .L__assert_fail.num_vgpr)
	.set _ZN9rocsolver6v33100L18potf2_kernel_smallI19rocblas_complex_numIfEllPS3_EEvbT0_T2_lS5_lPT1_.num_agpr, max(0, .L__assert_fail.num_agpr)
	.set _ZN9rocsolver6v33100L18potf2_kernel_smallI19rocblas_complex_numIfEllPS3_EEvbT0_T2_lS5_lPT1_.numbered_sgpr, max(49, .L__assert_fail.numbered_sgpr)
	.set _ZN9rocsolver6v33100L18potf2_kernel_smallI19rocblas_complex_numIfEllPS3_EEvbT0_T2_lS5_lPT1_.num_named_barrier, max(0, .L__assert_fail.num_named_barrier)
	.set _ZN9rocsolver6v33100L18potf2_kernel_smallI19rocblas_complex_numIfEllPS3_EEvbT0_T2_lS5_lPT1_.private_seg_size, 0+max(.L__assert_fail.private_seg_size)
	.set _ZN9rocsolver6v33100L18potf2_kernel_smallI19rocblas_complex_numIfEllPS3_EEvbT0_T2_lS5_lPT1_.uses_vcc, or(1, .L__assert_fail.uses_vcc)
	.set _ZN9rocsolver6v33100L18potf2_kernel_smallI19rocblas_complex_numIfEllPS3_EEvbT0_T2_lS5_lPT1_.uses_flat_scratch, or(0, .L__assert_fail.uses_flat_scratch)
	.set _ZN9rocsolver6v33100L18potf2_kernel_smallI19rocblas_complex_numIfEllPS3_EEvbT0_T2_lS5_lPT1_.has_dyn_sized_stack, or(0, .L__assert_fail.has_dyn_sized_stack)
	.set _ZN9rocsolver6v33100L18potf2_kernel_smallI19rocblas_complex_numIfEllPS3_EEvbT0_T2_lS5_lPT1_.has_recursion, or(0, .L__assert_fail.has_recursion)
	.set _ZN9rocsolver6v33100L18potf2_kernel_smallI19rocblas_complex_numIfEllPS3_EEvbT0_T2_lS5_lPT1_.has_indirect_call, or(0, .L__assert_fail.has_indirect_call)
	.section	.AMDGPU.csdata,"",@progbits
; Kernel info:
; codeLenInByte = 5188
; TotalNumSgprs: 51
; NumVgprs: 53
; ScratchSize: 64
; MemoryBound: 0
; FloatMode: 240
; IeeeMode: 1
; LDSByteSize: 0 bytes/workgroup (compile time only)
; SGPRBlocks: 0
; VGPRBlocks: 3
; NumSGPRsForWavesPerEU: 51
; NumVGPRsForWavesPerEU: 53
; NamedBarCnt: 0
; Occupancy: 16
; WaveLimiterHint : 1
; COMPUTE_PGM_RSRC2:SCRATCH_EN: 1
; COMPUTE_PGM_RSRC2:USER_SGPR: 2
; COMPUTE_PGM_RSRC2:TRAP_HANDLER: 0
; COMPUTE_PGM_RSRC2:TGID_X_EN: 1
; COMPUTE_PGM_RSRC2:TGID_Y_EN: 0
; COMPUTE_PGM_RSRC2:TGID_Z_EN: 1
; COMPUTE_PGM_RSRC2:TIDIG_COMP_CNT: 2
	.section	.text._ZN9rocsolver6v33100L18potf2_kernel_smallI19rocblas_complex_numIfEllPKPS3_EEvbT0_T2_lS7_lPT1_,"axG",@progbits,_ZN9rocsolver6v33100L18potf2_kernel_smallI19rocblas_complex_numIfEllPKPS3_EEvbT0_T2_lS7_lPT1_,comdat
	.globl	_ZN9rocsolver6v33100L18potf2_kernel_smallI19rocblas_complex_numIfEllPKPS3_EEvbT0_T2_lS7_lPT1_ ; -- Begin function _ZN9rocsolver6v33100L18potf2_kernel_smallI19rocblas_complex_numIfEllPKPS3_EEvbT0_T2_lS7_lPT1_
	.p2align	8
	.type	_ZN9rocsolver6v33100L18potf2_kernel_smallI19rocblas_complex_numIfEllPKPS3_EEvbT0_T2_lS7_lPT1_,@function
_ZN9rocsolver6v33100L18potf2_kernel_smallI19rocblas_complex_numIfEllPKPS3_EEvbT0_T2_lS7_lPT1_: ; @_ZN9rocsolver6v33100L18potf2_kernel_smallI19rocblas_complex_numIfEllPKPS3_EEvbT0_T2_lS7_lPT1_
; %bb.0:
	s_load_b64 s[26:27], s[0:1], 0x44
	v_mov_b32_e32 v41, v0
	s_mov_b64 s[22:23], s[0:1]
	s_mov_b32 s32, 0
	s_wait_kmcnt 0x0
	s_and_b32 s0, s27, 0xffff
	s_delay_alu instid0(SALU_CYCLE_1)
	s_cmp_eq_u32 s0, 1
	s_cbranch_scc1 .LBB5_2
; %bb.1:
	s_get_pc_i64 s[0:1]
	s_add_nc_u64 s[0:1], s[0:1], .str@rel64+4
	s_get_pc_i64 s[2:3]
	s_add_nc_u64 s[2:3], s[2:3], __PRETTY_FUNCTION__._ZN9rocsolver6v33100L18potf2_kernel_smallI19rocblas_complex_numIfEllPKPS3_EEvbT0_T2_lS7_lPT1_@rel64+4
	v_dual_mov_b32 v0, s0 :: v_dual_mov_b32 v1, s1
	v_dual_mov_b32 v2, 0x125 :: v_dual_mov_b32 v3, s2
	v_mov_b32_e32 v4, s3
	s_add_nc_u64 s[8:9], s[22:23], 56
	s_get_pc_i64 s[4:5]
	s_add_nc_u64 s[4:5], s[4:5], __assert_fail@rel64+4
	s_delay_alu instid0(SALU_CYCLE_1)
	s_swap_pc_i64 s[30:31], s[4:5]
	s_mov_b32 s34, -1
	s_cbranch_execz .LBB5_3
	s_branch .LBB5_93
.LBB5_2:
	s_mov_b32 s34, 0
.LBB5_3:
	s_load_b256 s[36:43], s[22:23], 0x8
	s_wait_kmcnt 0x0
	s_cmp_lg_u64 s[38:39], 0
	s_cbranch_scc0 .LBB5_9
; %bb.4:
	s_load_b64 s[28:29], s[22:23], 0x30
	s_wait_kmcnt 0x0
	s_cmp_lg_u64 s[28:29], 0
	s_cbranch_scc0 .LBB5_10
; %bb.5:
	s_bfe_u32 s0, ttmp6, 0x40014
	s_lshr_b32 s1, ttmp7, 16
	s_add_co_i32 s0, s0, 1
	s_bfe_u32 s2, ttmp6, 0x40008
	s_mul_i32 s0, s1, s0
	s_getreg_b32 s3, hwreg(HW_REG_IB_STS2, 6, 4)
	s_add_co_i32 s2, s2, s0
	s_cmp_eq_u32 s3, 0
	s_mov_b32 s0, 0
	s_cselect_b32 s44, s1, s2
	s_delay_alu instid0(SALU_CYCLE_1)
	v_mov_b32_e32 v0, s44
	global_load_b64 v[46:47], v0, s[38:39] scale_offset
	s_wait_loadcnt 0x0
	v_cmp_ne_u64_e32 vcc_lo, 0, v[46:47]
	s_cbranch_vccz .LBB5_11
; %bb.6:
	s_load_b32 s2, s[22:23], 0x0
	v_bfe_u32 v44, v41, 10, 10
	v_mov_b32_e32 v45, 0
	v_and_b32_e32 v42, 0x3ff, v41
	s_mov_b32 s1, -1
	s_wait_storecnt 0x0
	s_barrier_signal -1
	v_cmp_gt_i64_e64 s21, s[36:37], v[44:45]
	s_barrier_wait -1
	s_wait_kmcnt 0x0
	s_bitcmp1_b32 s2, 0
	s_cselect_b32 s2, -1, 0
	s_lshr_b32 s24, s26, 16
	s_xor_b32 s38, s2, -1
	s_and_b32 s26, s26, 0xffff
	s_and_b32 vcc_lo, exec_lo, s38
	s_cbranch_vccnz .LBB5_12
; %bb.7:
	s_and_b32 vcc_lo, exec_lo, s1
	s_cbranch_vccnz .LBB5_27
.LBB5_8:
	s_and_saveexec_b32 s35, s0
	s_cbranch_execnz .LBB5_34
	s_branch .LBB5_87
.LBB5_9:
	s_cbranch_execnz .LBB5_92
	s_branch .LBB5_93
.LBB5_10:
	s_cbranch_execnz .LBB5_90
	s_branch .LBB5_91
.LBB5_11:
	s_cbranch_execnz .LBB5_88
	s_branch .LBB5_89
.LBB5_12:
	s_mov_b32 s0, -1
	s_and_saveexec_b32 s35, s21
	s_cbranch_execz .LBB5_26
; %bb.13:
	v_mul_u64_e32 v[0:1], s[42:43], v[44:45]
	v_mov_b32_e32 v43, 0
	s_lshl_b64 s[0:1], s[40:41], 3
	v_add_lshl_u32 v2, v44, v42, 3
	v_mov_b64_e32 v[4:5], v[44:45]
	s_mov_b32 s27, 0
	v_mov_b32_e32 v3, v43
	s_mov_b32 s25, s27
	s_lshl_b32 s6, s26, 3
	s_mov_b32 s7, s27
	s_mov_b32 s8, s27
                                        ; implicit-def: $sgpr9
	v_lshl_add_u64 v[0:1], v[0:1], 3, s[0:1]
	s_lshl_b64 s[0:1], s[36:37], 1
	s_delay_alu instid0(SALU_CYCLE_1) | instskip(SKIP_1) | instid1(VALU_DEP_1)
	s_or_b64 s[2:3], s[0:1], 1
	s_lshl_b64 s[0:1], s[42:43], 3
	v_add_nc_u64_e32 v[2:3], v[0:1], v[2:3]
	v_dual_mov_b32 v1, v43 :: v_dual_add_nc_u32 v0, v44, v42
	s_add_nc_u64 s[0:1], s[0:1], 8
	s_delay_alu instid0(SALU_CYCLE_1) | instskip(NEXT) | instid1(VALU_DEP_2)
	s_mul_u64 s[4:5], s[0:1], s[24:25]
                                        ; implicit-def: $sgpr1
	v_add_nc_u64_e32 v[2:3], v[46:47], v[2:3]
	s_branch .LBB5_15
.LBB5_14:                               ;   in Loop: Header=BB5_15 Depth=1
	s_or_b32 exec_lo, exec_lo, s10
	s_delay_alu instid0(SALU_CYCLE_1) | instskip(NEXT) | instid1(SALU_CYCLE_1)
	s_and_b32 s0, exec_lo, s0
	s_or_b32 s8, s0, s8
	s_and_not1_b32 s0, s1, exec_lo
	s_and_b32 s1, s9, exec_lo
	s_delay_alu instid0(SALU_CYCLE_1)
	s_or_b32 s1, s0, s1
	s_and_not1_b32 exec_lo, exec_lo, s8
	s_cbranch_execz .LBB5_23
.LBB5_15:                               ; =>This Loop Header: Depth=1
                                        ;     Child Loop BB5_18 Depth 2
	v_add_nc_u64_e32 v[6:7], v[4:5], v[42:43]
	s_mov_b32 s11, -1
	s_mov_b32 s10, exec_lo
	s_delay_alu instid0(VALU_DEP_1)
	v_cmpx_gt_i64_e64 s[36:37], v[6:7]
	s_cbranch_execz .LBB5_21
; %bb.16:                               ;   in Loop: Header=BB5_15 Depth=1
	v_sub_nc_u64_e32 v[8:9], s[2:3], v[4:5]
	s_mov_b32 s11, 0
	v_cmp_ge_u64_e32 vcc_lo, v[0:1], v[4:5]
                                        ; implicit-def: $sgpr12
                                        ; implicit-def: $sgpr14
                                        ; implicit-def: $sgpr13
	s_delay_alu instid0(VALU_DEP_2) | instskip(NEXT) | instid1(VALU_DEP_1)
	v_mul_u64_e32 v[8:9], v[8:9], v[4:5]
	v_lshrrev_b32_e32 v9, 31, v9
	s_delay_alu instid0(VALU_DEP_1) | instskip(NEXT) | instid1(VALU_DEP_1)
	v_add_nc_u32_e32 v8, v8, v9
	v_lshrrev_b32_e32 v8, 1, v8
	s_delay_alu instid0(VALU_DEP_1) | instskip(NEXT) | instid1(VALU_DEP_1)
	v_add_nc_u32_e32 v8, v42, v8
	v_lshl_add_u32 v10, v8, 3, 0
	v_mov_b64_e32 v[8:9], v[2:3]
	s_branch .LBB5_18
.LBB5_17:                               ;   in Loop: Header=BB5_18 Depth=2
	s_or_b32 exec_lo, exec_lo, s15
	s_xor_b32 s0, s13, -1
	s_and_b32 s15, exec_lo, s14
	s_delay_alu instid0(SALU_CYCLE_1) | instskip(SKIP_2) | instid1(SALU_CYCLE_1)
	s_or_b32 s11, s15, s11
	s_and_not1_b32 s12, s12, exec_lo
	s_and_b32 s0, s0, exec_lo
	s_or_b32 s12, s12, s0
	s_and_not1_b32 exec_lo, exec_lo, s11
	s_cbranch_execz .LBB5_20
.LBB5_18:                               ;   Parent Loop BB5_15 Depth=1
                                        ; =>  This Inner Loop Header: Depth=2
	s_or_b32 s13, s13, exec_lo
	s_or_b32 s14, s14, exec_lo
	s_and_saveexec_b32 s15, vcc_lo
	s_cbranch_execz .LBB5_17
; %bb.19:                               ;   in Loop: Header=BB5_18 Depth=2
	flat_load_b64 v[12:13], v[8:9]
	v_add_nc_u64_e32 v[6:7], s[26:27], v[6:7]
	s_wait_xcnt 0x0
	v_add_nc_u64_e32 v[8:9], s[6:7], v[8:9]
	s_and_not1_b32 s14, s14, exec_lo
	s_and_not1_b32 s13, s13, exec_lo
	s_delay_alu instid0(VALU_DEP_2) | instskip(SKIP_1) | instid1(SALU_CYCLE_1)
	v_cmp_le_i64_e64 s0, s[36:37], v[6:7]
	s_and_b32 s0, s0, exec_lo
	s_or_b32 s14, s14, s0
	s_wait_loadcnt_dscnt 0x0
	ds_store_2addr_b32 v10, v12, v13 offset1:1
	v_add_nc_u32_e32 v10, s6, v10
	s_branch .LBB5_17
.LBB5_20:                               ;   in Loop: Header=BB5_15 Depth=1
	s_or_b32 exec_lo, exec_lo, s11
	s_delay_alu instid0(SALU_CYCLE_1)
	s_or_not1_b32 s11, s12, exec_lo
.LBB5_21:                               ;   in Loop: Header=BB5_15 Depth=1
	s_or_b32 exec_lo, exec_lo, s10
	s_mov_b32 s0, -1
	s_or_b32 s9, s9, exec_lo
	s_and_saveexec_b32 s10, s11
	s_cbranch_execz .LBB5_14
; %bb.22:                               ;   in Loop: Header=BB5_15 Depth=1
	v_add_nc_u64_e32 v[4:5], s[24:25], v[4:5]
	v_add_nc_u64_e32 v[0:1], s[24:25], v[0:1]
	v_add_nc_u64_e32 v[2:3], s[4:5], v[2:3]
	s_and_not1_b32 s9, s9, exec_lo
	s_delay_alu instid0(VALU_DEP_3)
	v_cmp_le_i64_e32 vcc_lo, s[36:37], v[4:5]
	s_or_not1_b32 s0, vcc_lo, exec_lo
	s_branch .LBB5_14
.LBB5_23:
	s_or_b32 exec_lo, exec_lo, s8
	s_mov_b32 s0, -1
	s_mov_b32 s2, s34
	s_and_saveexec_b32 s3, s1
	s_delay_alu instid0(SALU_CYCLE_1)
	s_xor_b32 s25, exec_lo, s3
	s_cbranch_execz .LBB5_25
; %bb.24:
	s_get_pc_i64 s[0:1]
	s_add_nc_u64 s[0:1], s[0:1], .str.10@rel64+4
	s_get_pc_i64 s[2:3]
	s_add_nc_u64 s[2:3], s[2:3], __PRETTY_FUNCTION__._ZN9rocsolver6v33100L9idx_lowerIlEET_S2_S2_S2_@rel64+4
	v_dual_mov_b32 v0, s0 :: v_dual_mov_b32 v1, s1
	v_dual_mov_b32 v2, 0x51 :: v_dual_mov_b32 v3, s2
	v_mov_b32_e32 v4, s3
	s_add_nc_u64 s[8:9], s[22:23], 56
	s_get_pc_i64 s[4:5]
	s_add_nc_u64 s[4:5], s[4:5], __assert_fail@rel64+4
	s_delay_alu instid0(SALU_CYCLE_1)
	s_swap_pc_i64 s[30:31], s[4:5]
	s_or_b32 s2, s34, exec_lo
	s_xor_b32 s0, exec_lo, -1
.LBB5_25:
	s_or_b32 exec_lo, exec_lo, s25
	s_delay_alu instid0(SALU_CYCLE_1)
	s_and_not1_b32 s1, s34, exec_lo
	s_and_b32 s2, s2, exec_lo
	s_or_not1_b32 s0, s0, exec_lo
	s_or_b32 s34, s1, s2
.LBB5_26:
	s_or_b32 exec_lo, exec_lo, s35
	s_branch .LBB5_8
.LBB5_27:
	s_and_saveexec_b32 s4, s21
	s_cbranch_execz .LBB5_33
; %bb.28:
	v_mul_u64_e32 v[0:1], s[42:43], v[44:45]
	v_dual_mov_b32 v43, 0 :: v_dual_lshlrev_b32 v2, 3, v42
	s_lshl_b64 s[0:1], s[40:41], 3
	s_mov_b32 s27, 0
	s_delay_alu instid0(VALU_DEP_1) | instskip(SKIP_4) | instid1(VALU_DEP_3)
	v_dual_mov_b32 v3, v43 :: v_dual_sub_nc_u32 v12, v44, v42
	s_mov_b32 s25, s27
	s_lshl_b32 s2, s26, 3
	s_mov_b32 s3, s27
	s_mov_b32 s5, s27
	v_lshl_add_u64 v[0:1], v[0:1], 3, s[0:1]
	s_lshl_b64 s[0:1], s[36:37], 1
	s_delay_alu instid0(VALU_DEP_1) | instskip(SKIP_2) | instid1(SALU_CYCLE_1)
	v_add_nc_u64_e32 v[0:1], v[0:1], v[2:3]
	v_sub_nc_u64_e32 v[2:3], s[0:1], v[42:43]
	s_mul_u64 s[0:1], s[42:43], s[24:25]
	s_lshl_b64 s[0:1], s[0:1], 3
	s_delay_alu instid0(VALU_DEP_2) | instskip(NEXT) | instid1(VALU_DEP_2)
	v_add_nc_u64_e32 v[4:5], v[46:47], v[0:1]
	v_add_nc_u64_e32 v[0:1], 1, v[2:3]
	s_delay_alu instid0(VALU_DEP_2)
	v_add_nc_u64_e32 v[2:3], 4, v[4:5]
	v_mov_b64_e32 v[4:5], v[44:45]
	s_branch .LBB5_30
.LBB5_29:                               ;   in Loop: Header=BB5_30 Depth=1
	s_or_b32 exec_lo, exec_lo, s6
	v_add_nc_u64_e32 v[4:5], s[24:25], v[4:5]
	v_add_nc_u64_e32 v[2:3], s[0:1], v[2:3]
	v_add_nc_u32_e32 v12, s24, v12
	s_delay_alu instid0(VALU_DEP_3) | instskip(SKIP_1) | instid1(SALU_CYCLE_1)
	v_cmp_le_i64_e32 vcc_lo, s[36:37], v[4:5]
	s_or_b32 s5, vcc_lo, s5
	s_and_not1_b32 exec_lo, exec_lo, s5
	s_cbranch_execz .LBB5_33
.LBB5_30:                               ; =>This Loop Header: Depth=1
                                        ;     Child Loop BB5_32 Depth 2
	s_mov_b32 s6, exec_lo
	s_delay_alu instid0(VALU_DEP_1)
	v_cmpx_ge_u64_e64 v[4:5], v[42:43]
	s_cbranch_execz .LBB5_29
; %bb.31:                               ;   in Loop: Header=BB5_30 Depth=1
	s_delay_alu instid0(VALU_DEP_3)
	v_mov_b64_e32 v[6:7], v[2:3]
	v_mov_b64_e32 v[8:9], v[0:1]
	;; [unrolled: 1-line block ×3, first 2 shown]
	v_mov_b32_e32 v13, v12
	s_mov_b32 s7, 0
.LBB5_32:                               ;   Parent Loop BB5_30 Depth=1
                                        ; =>  This Inner Loop Header: Depth=2
	flat_load_b64 v[14:15], v[6:7] offset:-4
	v_mul_u64_e32 v[16:17], v[8:9], v[10:11]
	v_add_nc_u64_e32 v[10:11], s[26:27], v[10:11]
	v_sub_nc_u64_e64 v[8:9], v[8:9], s[26:27]
	s_wait_xcnt 0x0
	v_add_nc_u64_e32 v[6:7], s[2:3], v[6:7]
	s_delay_alu instid0(VALU_DEP_3) | instskip(SKIP_2) | instid1(VALU_DEP_1)
	v_cmp_gt_u64_e32 vcc_lo, v[10:11], v[4:5]
	s_or_b32 s7, vcc_lo, s7
	v_lshrrev_b32_e32 v17, 31, v17
	v_add_nc_u32_e32 v16, v16, v17
	s_delay_alu instid0(VALU_DEP_1) | instskip(NEXT) | instid1(VALU_DEP_1)
	v_lshrrev_b32_e32 v16, 1, v16
	v_add_nc_u32_e32 v16, v13, v16
	v_subrev_nc_u32_e32 v13, s26, v13
	s_delay_alu instid0(VALU_DEP_2)
	v_lshl_add_u32 v16, v16, 3, 0
	s_wait_loadcnt_dscnt 0x0
	v_xor_b32_e32 v15, 0x80000000, v15
	ds_store_2addr_b32 v16, v14, v15 offset1:1
	s_and_not1_b32 exec_lo, exec_lo, s7
	s_cbranch_execnz .LBB5_32
	s_branch .LBB5_29
.LBB5_33:
	s_or_b32 exec_lo, exec_lo, s4
	s_mov_b32 s0, -1
	s_delay_alu instid0(SALU_CYCLE_1)
	s_and_saveexec_b32 s35, s0
	s_cbranch_execz .LBB5_87
.LBB5_34:
	v_cmp_lt_i64_e64 s0, s[36:37], 1
	s_wait_storecnt_dscnt 0x0
	s_barrier_signal -1
	s_barrier_wait -1
	s_and_b32 vcc_lo, exec_lo, s0
	s_cbranch_vccnz .LBB5_59
; %bb.35:
	v_mad_u32_u24 v0, v44, s26, v42
	v_bfe_u32 v1, v41, 20, 10
	s_mul_i32 s2, s24, s26
	s_lshl_b64 s[0:1], s[36:37], 1
	s_lshl_b32 s4, s44, 3
	s_or_b64 s[8:9], s[0:1], 1
	v_mad_u32 v0, s2, v1, v0
	v_dual_mov_b32 v1, 0 :: v_dual_sub_nc_u32 v12, v42, v44
	s_mov_b32 s5, 0
	s_lshl_b32 s20, s2, 3
	s_add_nc_u64 s[6:7], s[28:29], s[4:5]
	s_delay_alu instid0(VALU_DEP_1) | instskip(SKIP_4) | instid1(VALU_DEP_3)
	v_mov_b32_e32 v43, v1
	s_mov_b32 s3, s5
	s_mov_b32 s27, s5
	;; [unrolled: 1-line block ×3, first 2 shown]
	s_lshl_b32 s28, s26, 3
	v_cmp_eq_u32_e64 s0, 0, v0
	s_mov_b64 s[14:15], 0
	s_mov_b64 s[10:11], 0
	s_branch .LBB5_37
.LBB5_36:                               ;   in Loop: Header=BB5_37 Depth=1
	s_and_not1_b32 vcc_lo, exec_lo, s1
	s_mov_b64 s[10:11], s[12:13]
	s_cbranch_vccz .LBB5_59
.LBB5_37:                               ; =>This Loop Header: Depth=1
                                        ;     Child Loop BB5_48 Depth 2
                                        ;     Child Loop BB5_52 Depth 2
                                        ;       Child Loop BB5_55 Depth 3
	s_add_nc_u64 s[12:13], s[14:15], s[8:9]
	s_mov_b32 s19, -1
	s_mul_u64 s[12:13], s[12:13], s[10:11]
	s_delay_alu instid0(SALU_CYCLE_1) | instskip(NEXT) | instid1(SALU_CYCLE_1)
	s_lshr_b32 s4, s13, 31
	s_add_nc_u64 s[12:13], s[12:13], s[4:5]
	s_delay_alu instid0(SALU_CYCLE_1) | instskip(SKIP_2) | instid1(SALU_CYCLE_1)
	s_ashr_i64 s[16:17], s[12:13], 1
	s_add_nc_u64 s[12:13], s[10:11], 1
	s_lshl_b32 s1, s16, 3
	s_add_co_i32 s1, s1, 0
	s_delay_alu instid0(SALU_CYCLE_1)
	v_mov_b32_e32 v2, s1
	ds_load_b32 v2, v2
	s_wait_dscnt 0x0
	v_cmp_class_f32_e64 s4, v2, 0x180
	v_readfirstlane_b32 s18, v2
	s_and_b32 vcc_lo, exec_lo, s4
	s_cbranch_vccz .LBB5_40
; %bb.38:                               ;   in Loop: Header=BB5_37 Depth=1
	s_and_not1_b32 vcc_lo, exec_lo, s19
	s_cbranch_vccz .LBB5_44
.LBB5_39:                               ;   in Loop: Header=BB5_37 Depth=1
	s_and_b32 vcc_lo, exec_lo, s4
	s_mov_b32 s1, -1
                                        ; implicit-def: $sgpr14_sgpr15
	s_cbranch_vccz .LBB5_36
	s_branch .LBB5_58
.LBB5_40:                               ;   in Loop: Header=BB5_37 Depth=1
	s_and_saveexec_b32 s19, s0
	s_cbranch_execz .LBB5_43
; %bb.41:                               ;   in Loop: Header=BB5_37 Depth=1
	global_load_b64 v[2:3], v1, s[6:7]
	s_wait_loadcnt 0x0
	v_cmp_ne_u64_e32 vcc_lo, 0, v[2:3]
	v_mov_b32_e32 v2, s1
	ds_store_b32 v2, v1 offset:4
	s_cbranch_vccnz .LBB5_43
; %bb.42:                               ;   in Loop: Header=BB5_37 Depth=1
	s_add_nc_u64 s[30:31], s[10:11], 1
	s_delay_alu instid0(SALU_CYCLE_1)
	v_mov_b64_e32 v[2:3], s[30:31]
	global_store_b64 v1, v[2:3], s[6:7]
.LBB5_43:                               ;   in Loop: Header=BB5_37 Depth=1
	s_wait_xcnt 0x0
	s_or_b32 exec_lo, exec_lo, s19
	s_cbranch_execnz .LBB5_39
.LBB5_44:                               ;   in Loop: Header=BB5_37 Depth=1
	s_mul_f32 s19, s18, 0x4f800000
	s_cmp_lt_f32 s18, 0xf800000
	s_delay_alu instid0(SALU_CYCLE_2) | instskip(NEXT) | instid1(SALU_CYCLE_1)
	s_cselect_b32 s19, s19, s18
	v_s_sqrt_f32 s29, s19
	s_mov_b32 s31, s19
	s_delay_alu instid0(TRANS32_DEP_1) | instskip(NEXT) | instid1(SALU_CYCLE_1)
	s_add_co_i32 s30, s29, -1
	s_xor_b32 s33, s30, 0x80000000
	s_delay_alu instid0(SALU_CYCLE_1) | instskip(SKIP_1) | instid1(SALU_CYCLE_2)
	s_fmac_f32 s31, s33, s29
	s_mov_b32 s33, s19
	s_cmp_le_f32 s31, 0
	s_cselect_b32 s30, s30, s29
	s_add_co_i32 s31, s29, 1
	s_delay_alu instid0(SALU_CYCLE_1) | instskip(NEXT) | instid1(SALU_CYCLE_1)
	s_xor_b32 s39, s31, 0x80000000
	s_fmac_f32 s33, s39, s29
	s_delay_alu instid0(SALU_CYCLE_3) | instskip(SKIP_4) | instid1(SALU_CYCLE_2)
	s_cmp_gt_f32 s33, 0
	s_cselect_b32 s29, s31, s30
	s_cmp_lt_f32 s18, 0xf800000
	s_mul_f32 s18, s29, 0x37800000
	v_cmp_class_f32_e64 s30, s19, 0x260
	s_cselect_b32 s18, s18, s29
	s_and_b32 s29, s30, exec_lo
	s_cselect_b32 s29, s19, s18
	s_and_saveexec_b32 s18, s0
; %bb.45:                               ;   in Loop: Header=BB5_37 Depth=1
	v_dual_mov_b32 v2, s1 :: v_dual_mov_b32 v3, s29
	ds_store_2addr_b32 v2, v3, v1 offset1:1
; %bb.46:                               ;   in Loop: Header=BB5_37 Depth=1
	s_or_b32 exec_lo, exec_lo, s18
	s_add_nc_u64 s[18:19], s[10:11], 1
	s_mov_b32 s1, exec_lo
	v_add_nc_u64_e32 v[2:3], s[18:19], v[0:1]
	s_wait_storecnt_dscnt 0x0
	s_barrier_signal -1
	s_barrier_wait -1
	s_delay_alu instid0(VALU_DEP_1)
	v_cmpx_gt_i64_e64 s[36:37], v[2:3]
	s_cbranch_execz .LBB5_49
; %bb.47:                               ;   in Loop: Header=BB5_37 Depth=1
	v_div_scale_f32 v4, null, s29, s29, 0
	v_div_scale_f32 v7, vcc_lo, 0, s29, 0
	s_delay_alu instid0(VALU_DEP_2)
	v_rcp_f32_e32 v5, v4
	v_nop
	v_xor_b32_e32 v4, 0x80000000, v4
	s_delay_alu instid0(TRANS32_DEP_1) | instid1(VALU_DEP_1)
	v_fma_f32 v6, v4, v5, 1.0
	s_delay_alu instid0(VALU_DEP_1) | instskip(NEXT) | instid1(VALU_DEP_1)
	v_fmac_f32_e32 v5, v6, v5
	v_mul_f32_e32 v6, v7, v5
	s_delay_alu instid0(VALU_DEP_1) | instskip(NEXT) | instid1(VALU_DEP_1)
	v_fma_f32 v8, v4, v6, v7
	v_fmac_f32_e32 v6, v8, v5
	s_delay_alu instid0(VALU_DEP_1) | instskip(NEXT) | instid1(VALU_DEP_1)
	v_fmac_f32_e32 v7, v4, v6
	v_div_fmas_f32 v4, v7, v5, v6
	s_delay_alu instid0(VALU_DEP_1) | instskip(NEXT) | instid1(VALU_DEP_1)
	v_div_fixup_f32 v4, v4, s29, 0
	v_fma_f32 v5, v4, 0, s29
	s_mov_b32 s29, 0
	s_delay_alu instid0(VALU_DEP_1) | instskip(SKIP_1) | instid1(VALU_DEP_2)
	v_div_scale_f32 v6, null, v5, v5, 1.0
	v_div_scale_f32 v9, vcc_lo, 1.0, v5, 1.0
	v_rcp_f32_e32 v7, v6
	v_nop
	v_xor_b32_e32 v6, 0x80000000, v6
	s_delay_alu instid0(TRANS32_DEP_1) | instid1(VALU_DEP_1)
	v_fma_f32 v8, v6, v7, 1.0
	s_delay_alu instid0(VALU_DEP_1) | instskip(NEXT) | instid1(VALU_DEP_1)
	v_fmac_f32_e32 v7, v8, v7
	v_mul_f32_e32 v8, v9, v7
	s_delay_alu instid0(VALU_DEP_1) | instskip(NEXT) | instid1(VALU_DEP_1)
	v_fma_f32 v10, v6, v8, v9
	v_fmac_f32_e32 v8, v10, v7
	s_delay_alu instid0(VALU_DEP_1) | instskip(NEXT) | instid1(VALU_DEP_1)
	v_fmac_f32_e32 v9, v6, v8
	v_div_fmas_f32 v6, v9, v7, v8
	v_add_lshl_u32 v8, v0, s16, 3
	s_delay_alu instid0(VALU_DEP_2) | instskip(SKIP_1) | instid1(VALU_DEP_3)
	v_div_fixup_f32 v6, v6, v5, 1.0
	v_mov_b32_e32 v5, v4
	v_add3_u32 v8, 0, 8, v8
	s_delay_alu instid0(VALU_DEP_3)
	v_mov_b32_e32 v7, v6
.LBB5_48:                               ;   Parent Loop BB5_37 Depth=1
                                        ; =>  This Inner Loop Header: Depth=2
	ds_load_2addr_b32 v[10:11], v8 offset1:1
	v_add_nc_u64_e32 v[2:3], s[2:3], v[2:3]
	s_delay_alu instid0(VALU_DEP_1) | instskip(SKIP_4) | instid1(VALU_DEP_2)
	v_cmp_le_i64_e32 vcc_lo, s[36:37], v[2:3]
	s_or_b32 s29, vcc_lo, s29
	s_wait_dscnt 0x0
	v_pk_fma_f32 v[14:15], v[4:5], v[10:11], v[10:11] op_sel:[0,1,0] op_sel_hi:[1,0,1] neg_lo:[1,0,0] neg_hi:[1,0,0]
	v_pk_fma_f32 v[10:11], v[4:5], v[10:11], v[10:11] op_sel:[0,1,0] op_sel_hi:[1,0,1]
	v_mov_b32_e32 v11, v15
	s_delay_alu instid0(VALU_DEP_1)
	v_pk_mul_f32 v[10:11], v[6:7], v[10:11]
	ds_store_2addr_b32 v8, v10, v11 offset1:1
	v_add_nc_u32_e32 v8, s20, v8
	s_and_not1_b32 exec_lo, exec_lo, s29
	s_cbranch_execnz .LBB5_48
.LBB5_49:                               ;   in Loop: Header=BB5_37 Depth=1
	s_or_b32 exec_lo, exec_lo, s1
	v_add_nc_u64_e32 v[2:3], s[18:19], v[44:45]
	s_mov_b32 s29, exec_lo
	s_wait_dscnt 0x0
	s_barrier_signal -1
	s_barrier_wait -1
	s_delay_alu instid0(VALU_DEP_1)
	v_cmpx_gt_i64_e64 s[36:37], v[2:3]
	s_cbranch_execz .LBB5_57
; %bb.50:                               ;   in Loop: Header=BB5_37 Depth=1
	v_add_nc_u64_e32 v[4:5], s[18:19], v[42:43]
	v_add_lshl_u32 v13, v42, s16, 3
	v_mov_b32_e32 v14, v12
	s_add_nc_u64 s[14:15], s[16:17], s[14:15]
	s_mov_b32 s15, 0
	s_delay_alu instid0(VALU_DEP_3)
	v_cmp_gt_i64_e32 vcc_lo, s[36:37], v[4:5]
	s_branch .LBB5_52
.LBB5_51:                               ;   in Loop: Header=BB5_52 Depth=2
	s_or_b32 exec_lo, exec_lo, s16
	v_add_nc_u64_e32 v[2:3], s[24:25], v[2:3]
	v_subrev_nc_u32_e32 v14, s24, v14
	s_delay_alu instid0(VALU_DEP_2) | instskip(SKIP_1) | instid1(SALU_CYCLE_1)
	v_cmp_le_i64_e64 s1, s[36:37], v[2:3]
	s_or_b32 s15, s1, s15
	s_and_not1_b32 exec_lo, exec_lo, s15
	s_cbranch_execz .LBB5_57
.LBB5_52:                               ;   Parent Loop BB5_37 Depth=1
                                        ; =>  This Loop Header: Depth=2
                                        ;       Child Loop BB5_55 Depth 3
	s_and_saveexec_b32 s16, vcc_lo
	s_cbranch_execz .LBB5_51
; %bb.53:                               ;   in Loop: Header=BB5_52 Depth=2
	v_sub_nc_u64_e32 v[6:7], s[8:9], v[2:3]
	s_mov_b32 s17, 0
	s_mov_b32 s18, 0
	s_delay_alu instid0(VALU_DEP_1) | instskip(NEXT) | instid1(VALU_DEP_1)
	v_mul_u64_e32 v[8:9], v[6:7], v[2:3]
	v_dual_add_nc_u32 v6, s14, v2 :: v_dual_lshrrev_b32 v9, 31, v9
	s_delay_alu instid0(VALU_DEP_1) | instskip(SKIP_3) | instid1(VALU_DEP_1)
	v_lshl_add_u32 v6, v6, 3, 0
	ds_load_2addr_b32 v[6:7], v6 offset1:1
	s_wait_dscnt 0x0
	v_dual_mov_b32 v9, v6 :: v_dual_add_nc_u32 v8, v8, v9
	v_dual_lshrrev_b32 v10, 1, v8 :: v_dual_mov_b32 v8, v7
	s_delay_alu instid0(VALU_DEP_1)
	v_add_lshl_u32 v15, v14, v10, 3
	v_mov_b64_e32 v[10:11], v[4:5]
	s_branch .LBB5_55
.LBB5_54:                               ;   in Loop: Header=BB5_55 Depth=3
	s_or_b32 exec_lo, exec_lo, s19
	v_add_nc_u64_e32 v[10:11], s[26:27], v[10:11]
	s_add_co_i32 s18, s18, s28
	s_delay_alu instid0(VALU_DEP_1) | instskip(SKIP_1) | instid1(SALU_CYCLE_1)
	v_cmp_le_i64_e64 s1, s[36:37], v[10:11]
	s_or_b32 s17, s1, s17
	s_and_not1_b32 exec_lo, exec_lo, s17
	s_cbranch_execz .LBB5_51
.LBB5_55:                               ;   Parent Loop BB5_37 Depth=1
                                        ;     Parent Loop BB5_52 Depth=2
                                        ; =>    This Inner Loop Header: Depth=3
	s_mov_b32 s19, exec_lo
	s_delay_alu instid0(VALU_DEP_1)
	v_cmpx_ge_u64_e64 v[10:11], v[2:3]
	s_cbranch_execz .LBB5_54
; %bb.56:                               ;   in Loop: Header=BB5_55 Depth=3
	v_dual_add_nc_u32 v16, s18, v13 :: v_dual_add_nc_u32 v23, s18, v15
	ds_load_2addr_b32 v[16:17], v16 offset0:2 offset1:3
	ds_load_2addr_b32 v[18:19], v23 offset1:1
	s_wait_dscnt 0x1
	v_pk_mul_f32 v[20:21], v[6:7], v[16:17] op_sel_hi:[1,0]
	v_mov_b32_e32 v22, v17
	s_delay_alu instid0(VALU_DEP_2) | instskip(NEXT) | instid1(VALU_DEP_2)
	v_pk_fma_f32 v[16:17], v[8:9], v[16:17], v[20:21] op_sel:[0,1,0] neg_lo:[0,0,1] neg_hi:[0,0,1]
	v_pk_fma_f32 v[20:21], v[8:9], v[22:23], v[20:21]
	s_delay_alu instid0(VALU_DEP_2) | instskip(SKIP_1) | instid1(VALU_DEP_1)
	v_mov_b32_e32 v21, v17
	s_wait_dscnt 0x0
	v_pk_add_f32 v[16:17], v[18:19], v[20:21] neg_lo:[0,1] neg_hi:[0,1]
	ds_store_2addr_b32 v23, v16, v17 offset1:1
	s_branch .LBB5_54
.LBB5_57:                               ;   in Loop: Header=BB5_37 Depth=1
	s_or_b32 exec_lo, exec_lo, s29
	s_wait_dscnt 0x0
	s_barrier_signal -1
	s_barrier_wait -1
	s_and_b32 vcc_lo, exec_lo, s4
	s_mov_b32 s1, -1
                                        ; implicit-def: $sgpr14_sgpr15
	s_cbranch_vccz .LBB5_36
.LBB5_58:                               ;   in Loop: Header=BB5_37 Depth=1
	s_not_b64 s[14:15], s[10:11]
	s_cmp_eq_u64 s[12:13], s[36:37]
	s_cselect_b32 s1, -1, 0
	s_branch .LBB5_36
.LBB5_59:
	s_and_not1_b32 vcc_lo, exec_lo, s38
	s_wait_storecnt_dscnt 0x0
	s_barrier_signal -1
	s_barrier_wait -1
	s_cbranch_vccnz .LBB5_71
; %bb.60:
	s_mov_b32 s0, -1
	s_mov_b32 s4, s34
	s_and_saveexec_b32 s28, s21
	s_cbranch_execz .LBB5_75
; %bb.61:
	v_mul_u64_e32 v[0:1], s[42:43], v[44:45]
	v_mov_b32_e32 v43, 0
	s_lshl_b64 s[0:1], s[40:41], 3
	v_add_lshl_u32 v2, v44, v42, 3
	v_mov_b64_e32 v[4:5], v[44:45]
	s_mov_b32 s27, 0
	v_mov_b32_e32 v3, v43
	s_mov_b32 s25, s27
	s_lshl_b32 s6, s26, 3
	s_mov_b32 s7, s27
	s_mov_b32 s8, s27
                                        ; implicit-def: $sgpr9
	v_lshl_add_u64 v[0:1], v[0:1], 3, s[0:1]
	s_lshl_b64 s[0:1], s[36:37], 1
	s_delay_alu instid0(SALU_CYCLE_1) | instskip(SKIP_1) | instid1(VALU_DEP_1)
	s_or_b64 s[2:3], s[0:1], 1
	s_lshl_b64 s[0:1], s[42:43], 3
	v_add_nc_u64_e32 v[2:3], v[0:1], v[2:3]
	v_dual_mov_b32 v1, v43 :: v_dual_add_nc_u32 v0, v44, v42
	s_add_nc_u64 s[0:1], s[0:1], 8
	s_delay_alu instid0(SALU_CYCLE_1) | instskip(NEXT) | instid1(VALU_DEP_2)
	s_mul_u64 s[4:5], s[0:1], s[24:25]
                                        ; implicit-def: $sgpr1
	v_add_nc_u64_e32 v[2:3], v[46:47], v[2:3]
	s_branch .LBB5_63
.LBB5_62:                               ;   in Loop: Header=BB5_63 Depth=1
	s_or_b32 exec_lo, exec_lo, s10
	s_delay_alu instid0(SALU_CYCLE_1) | instskip(NEXT) | instid1(SALU_CYCLE_1)
	s_and_b32 s0, exec_lo, s0
	s_or_b32 s8, s0, s8
	s_and_not1_b32 s0, s1, exec_lo
	s_and_b32 s1, s9, exec_lo
	s_delay_alu instid0(SALU_CYCLE_1)
	s_or_b32 s1, s0, s1
	s_and_not1_b32 exec_lo, exec_lo, s8
	s_cbranch_execz .LBB5_72
.LBB5_63:                               ; =>This Loop Header: Depth=1
                                        ;     Child Loop BB5_66 Depth 2
	v_add_nc_u64_e32 v[6:7], v[4:5], v[42:43]
	s_mov_b32 s11, -1
	s_mov_b32 s10, exec_lo
	s_delay_alu instid0(VALU_DEP_1)
	v_cmpx_gt_i64_e64 s[36:37], v[6:7]
	s_cbranch_execz .LBB5_69
; %bb.64:                               ;   in Loop: Header=BB5_63 Depth=1
	v_sub_nc_u64_e32 v[8:9], s[2:3], v[4:5]
	s_mov_b32 s11, 0
	v_cmp_ge_u64_e32 vcc_lo, v[0:1], v[4:5]
                                        ; implicit-def: $sgpr12
                                        ; implicit-def: $sgpr14
                                        ; implicit-def: $sgpr13
	s_delay_alu instid0(VALU_DEP_2) | instskip(NEXT) | instid1(VALU_DEP_1)
	v_mul_u64_e32 v[8:9], v[8:9], v[4:5]
	v_lshrrev_b32_e32 v9, 31, v9
	s_delay_alu instid0(VALU_DEP_1) | instskip(NEXT) | instid1(VALU_DEP_1)
	v_add_nc_u32_e32 v8, v8, v9
	v_lshrrev_b32_e32 v8, 1, v8
	s_delay_alu instid0(VALU_DEP_1) | instskip(NEXT) | instid1(VALU_DEP_1)
	v_add_nc_u32_e32 v8, v42, v8
	v_lshl_add_u32 v10, v8, 3, 0
	v_mov_b64_e32 v[8:9], v[2:3]
	s_branch .LBB5_66
.LBB5_65:                               ;   in Loop: Header=BB5_66 Depth=2
	s_or_b32 exec_lo, exec_lo, s15
	s_xor_b32 s0, s13, -1
	s_and_b32 s15, exec_lo, s14
	s_delay_alu instid0(SALU_CYCLE_1) | instskip(SKIP_2) | instid1(SALU_CYCLE_1)
	s_or_b32 s11, s15, s11
	s_and_not1_b32 s12, s12, exec_lo
	s_and_b32 s0, s0, exec_lo
	s_or_b32 s12, s12, s0
	s_and_not1_b32 exec_lo, exec_lo, s11
	s_cbranch_execz .LBB5_68
.LBB5_66:                               ;   Parent Loop BB5_63 Depth=1
                                        ; =>  This Inner Loop Header: Depth=2
	s_or_b32 s13, s13, exec_lo
	s_or_b32 s14, s14, exec_lo
	s_and_saveexec_b32 s15, vcc_lo
	s_cbranch_execz .LBB5_65
; %bb.67:                               ;   in Loop: Header=BB5_66 Depth=2
	ds_load_2addr_b32 v[12:13], v10 offset1:1
	v_add_nc_u64_e32 v[6:7], s[26:27], v[6:7]
	v_add_nc_u32_e32 v10, s6, v10
	s_and_not1_b32 s14, s14, exec_lo
	s_and_not1_b32 s13, s13, exec_lo
	s_delay_alu instid0(VALU_DEP_2) | instskip(SKIP_1) | instid1(SALU_CYCLE_1)
	v_cmp_le_i64_e64 s0, s[36:37], v[6:7]
	s_and_b32 s0, s0, exec_lo
	s_or_b32 s14, s14, s0
	s_wait_dscnt 0x0
	flat_store_b64 v[8:9], v[12:13]
	s_wait_xcnt 0x0
	v_add_nc_u64_e32 v[8:9], s[6:7], v[8:9]
	s_branch .LBB5_65
.LBB5_68:                               ;   in Loop: Header=BB5_63 Depth=1
	s_or_b32 exec_lo, exec_lo, s11
	s_delay_alu instid0(SALU_CYCLE_1)
	s_or_not1_b32 s11, s12, exec_lo
.LBB5_69:                               ;   in Loop: Header=BB5_63 Depth=1
	s_or_b32 exec_lo, exec_lo, s10
	s_mov_b32 s0, -1
	s_or_b32 s9, s9, exec_lo
	s_and_saveexec_b32 s10, s11
	s_cbranch_execz .LBB5_62
; %bb.70:                               ;   in Loop: Header=BB5_63 Depth=1
	v_add_nc_u64_e32 v[4:5], s[24:25], v[4:5]
	v_add_nc_u64_e32 v[0:1], s[24:25], v[0:1]
	;; [unrolled: 1-line block ×3, first 2 shown]
	s_and_not1_b32 s9, s9, exec_lo
	s_delay_alu instid0(VALU_DEP_3)
	v_cmp_le_i64_e32 vcc_lo, s[36:37], v[4:5]
	s_or_not1_b32 s0, vcc_lo, exec_lo
	s_branch .LBB5_62
.LBB5_71:
	s_mov_b32 s1, -1
	s_mov_b32 s0, 0
	s_mov_b32 s4, s34
	s_branch .LBB5_76
.LBB5_72:
	s_or_b32 exec_lo, exec_lo, s8
	s_mov_b32 s0, -1
	s_mov_b32 s2, s34
	s_and_saveexec_b32 s3, s1
	s_delay_alu instid0(SALU_CYCLE_1)
	s_xor_b32 s25, exec_lo, s3
	s_cbranch_execz .LBB5_74
; %bb.73:
	s_get_pc_i64 s[0:1]
	s_add_nc_u64 s[0:1], s[0:1], .str.10@rel64+4
	s_get_pc_i64 s[2:3]
	s_add_nc_u64 s[2:3], s[2:3], __PRETTY_FUNCTION__._ZN9rocsolver6v33100L9idx_lowerIlEET_S2_S2_S2_@rel64+4
	v_dual_mov_b32 v0, s0 :: v_dual_mov_b32 v1, s1
	v_dual_mov_b32 v2, 0x51 :: v_dual_mov_b32 v3, s2
	v_mov_b32_e32 v4, s3
	s_add_nc_u64 s[8:9], s[22:23], 56
	s_get_pc_i64 s[4:5]
	s_add_nc_u64 s[4:5], s[4:5], __assert_fail@rel64+4
	s_delay_alu instid0(SALU_CYCLE_1)
	s_swap_pc_i64 s[30:31], s[4:5]
	s_or_b32 s2, s34, exec_lo
	s_xor_b32 s0, exec_lo, -1
.LBB5_74:
	s_or_b32 exec_lo, exec_lo, s25
	s_delay_alu instid0(SALU_CYCLE_1)
	s_and_not1_b32 s1, s34, exec_lo
	s_and_b32 s2, s2, exec_lo
	s_or_not1_b32 s0, s0, exec_lo
	s_or_b32 s4, s1, s2
.LBB5_75:
	s_or_b32 exec_lo, exec_lo, s28
	s_mov_b32 s1, 0
.LBB5_76:
	s_delay_alu instid0(SALU_CYCLE_1)
	s_and_b32 vcc_lo, exec_lo, s1
	s_cbranch_vccz .LBB5_84
; %bb.77:
	s_and_saveexec_b32 s5, s21
	s_cbranch_execz .LBB5_83
; %bb.78:
	v_mul_u64_e32 v[0:1], s[42:43], v[44:45]
	v_dual_mov_b32 v43, 0 :: v_dual_lshlrev_b32 v2, 3, v42
	s_lshl_b64 s[0:1], s[40:41], 3
	s_mov_b32 s27, 0
	s_delay_alu instid0(VALU_DEP_1) | instskip(SKIP_4) | instid1(VALU_DEP_3)
	v_dual_mov_b32 v3, v43 :: v_dual_sub_nc_u32 v10, v44, v42
	s_mov_b32 s25, s27
	s_lshl_b32 s2, s26, 3
	s_mov_b32 s3, s27
	s_mov_b32 s6, s27
	v_lshl_add_u64 v[0:1], v[0:1], 3, s[0:1]
	s_lshl_b64 s[0:1], s[36:37], 1
	s_delay_alu instid0(VALU_DEP_1) | instskip(SKIP_2) | instid1(SALU_CYCLE_1)
	v_add_nc_u64_e32 v[0:1], v[0:1], v[2:3]
	v_sub_nc_u64_e32 v[2:3], s[0:1], v[42:43]
	s_mul_u64 s[0:1], s[42:43], s[24:25]
	s_lshl_b64 s[0:1], s[0:1], 3
	s_delay_alu instid0(VALU_DEP_2) | instskip(NEXT) | instid1(VALU_DEP_2)
	v_add_nc_u64_e32 v[4:5], v[46:47], v[0:1]
	v_add_nc_u64_e32 v[0:1], 1, v[2:3]
	s_delay_alu instid0(VALU_DEP_2)
	v_add_nc_u64_e32 v[2:3], 4, v[4:5]
	s_branch .LBB5_80
.LBB5_79:                               ;   in Loop: Header=BB5_80 Depth=1
	s_or_b32 exec_lo, exec_lo, s7
	v_add_nc_u64_e32 v[44:45], s[24:25], v[44:45]
	v_add_nc_u64_e32 v[2:3], s[0:1], v[2:3]
	v_add_nc_u32_e32 v10, s24, v10
	s_delay_alu instid0(VALU_DEP_3) | instskip(SKIP_1) | instid1(SALU_CYCLE_1)
	v_cmp_le_i64_e32 vcc_lo, s[36:37], v[44:45]
	s_or_b32 s6, vcc_lo, s6
	s_and_not1_b32 exec_lo, exec_lo, s6
	s_cbranch_execz .LBB5_83
.LBB5_80:                               ; =>This Loop Header: Depth=1
                                        ;     Child Loop BB5_82 Depth 2
	s_mov_b32 s7, exec_lo
	v_cmpx_ge_u64_e64 v[44:45], v[42:43]
	s_cbranch_execz .LBB5_79
; %bb.81:                               ;   in Loop: Header=BB5_80 Depth=1
	s_delay_alu instid0(VALU_DEP_2)
	v_mov_b64_e32 v[4:5], v[2:3]
	v_mov_b64_e32 v[6:7], v[0:1]
	;; [unrolled: 1-line block ×3, first 2 shown]
	v_mov_b32_e32 v11, v10
	s_mov_b32 s8, 0
.LBB5_82:                               ;   Parent Loop BB5_80 Depth=1
                                        ; =>  This Inner Loop Header: Depth=2
	s_delay_alu instid0(VALU_DEP_2) | instskip(SKIP_2) | instid1(VALU_DEP_2)
	v_mul_u64_e32 v[12:13], v[6:7], v[8:9]
	v_add_nc_u64_e32 v[8:9], s[26:27], v[8:9]
	v_sub_nc_u64_e64 v[6:7], v[6:7], s[26:27]
	v_cmp_gt_u64_e32 vcc_lo, v[8:9], v[44:45]
	s_or_b32 s8, vcc_lo, s8
	s_delay_alu instid0(VALU_DEP_4) | instskip(NEXT) | instid1(VALU_DEP_1)
	v_lshrrev_b32_e32 v13, 31, v13
	v_add_nc_u32_e32 v12, v12, v13
	s_delay_alu instid0(VALU_DEP_1) | instskip(NEXT) | instid1(VALU_DEP_1)
	v_lshrrev_b32_e32 v12, 1, v12
	v_add_nc_u32_e32 v12, v11, v12
	v_subrev_nc_u32_e32 v11, s26, v11
	s_delay_alu instid0(VALU_DEP_2)
	v_lshl_add_u32 v12, v12, 3, 0
	ds_load_2addr_b32 v[12:13], v12 offset1:1
	s_wait_dscnt 0x0
	v_xor_b32_e32 v13, 0x80000000, v13
	flat_store_b64 v[4:5], v[12:13] offset:-4
	s_wait_xcnt 0x0
	v_add_nc_u64_e32 v[4:5], s[2:3], v[4:5]
	s_and_not1_b32 exec_lo, exec_lo, s8
	s_cbranch_execnz .LBB5_82
	s_branch .LBB5_79
.LBB5_83:
	s_or_b32 exec_lo, exec_lo, s5
	s_mov_b32 s0, -1
.LBB5_84:
	s_delay_alu instid0(SALU_CYCLE_1) | instskip(NEXT) | instid1(SALU_CYCLE_1)
	s_and_saveexec_b32 s1, s0
	s_xor_b32 s0, exec_lo, s1
	s_cbranch_execz .LBB5_86
; %bb.85:
	s_wait_storecnt_dscnt 0x0
	s_barrier_signal -1
	s_barrier_wait -1
.LBB5_86:
	s_or_b32 exec_lo, exec_lo, s0
	s_delay_alu instid0(SALU_CYCLE_1) | instskip(SKIP_1) | instid1(SALU_CYCLE_1)
	s_and_not1_b32 s0, s34, exec_lo
	s_and_b32 s1, s4, exec_lo
	s_or_b32 s34, s0, s1
.LBB5_87:
	s_or_b32 exec_lo, exec_lo, s35
	s_branch .LBB5_89
.LBB5_88:
	s_get_pc_i64 s[0:1]
	s_add_nc_u64 s[0:1], s[0:1], .str.4@rel64+4
	s_get_pc_i64 s[2:3]
	s_add_nc_u64 s[2:3], s[2:3], __PRETTY_FUNCTION__._ZN9rocsolver6v33100L18potf2_kernel_smallI19rocblas_complex_numIfEllPKPS3_EEvbT0_T2_lS7_lPT1_@rel64+4
	s_wait_xcnt 0x0
	v_dual_mov_b32 v0, s0 :: v_dual_mov_b32 v1, s1
	v_dual_mov_b32 v2, 0x131 :: v_dual_mov_b32 v3, s2
	v_mov_b32_e32 v4, s3
	s_add_nc_u64 s[8:9], s[22:23], 56
	s_get_pc_i64 s[4:5]
	s_add_nc_u64 s[4:5], s[4:5], __assert_fail@rel64+4
	s_delay_alu instid0(SALU_CYCLE_1)
	s_swap_pc_i64 s[30:31], s[4:5]
	s_or_b32 s34, s34, exec_lo
.LBB5_89:
	s_branch .LBB5_91
.LBB5_90:
	s_get_pc_i64 s[0:1]
	s_add_nc_u64 s[0:1], s[0:1], .str.3@rel64+4
	s_get_pc_i64 s[2:3]
	s_add_nc_u64 s[2:3], s[2:3], __PRETTY_FUNCTION__._ZN9rocsolver6v33100L18potf2_kernel_smallI19rocblas_complex_numIfEllPKPS3_EEvbT0_T2_lS7_lPT1_@rel64+4
	s_wait_xcnt 0x0
	v_dual_mov_b32 v0, s0 :: v_dual_mov_b32 v1, s1
	v_dual_mov_b32 v2, 0x12c :: v_dual_mov_b32 v3, s2
	v_mov_b32_e32 v4, s3
	s_add_nc_u64 s[8:9], s[22:23], 56
	s_get_pc_i64 s[4:5]
	s_add_nc_u64 s[4:5], s[4:5], __assert_fail@rel64+4
	s_delay_alu instid0(SALU_CYCLE_1)
	s_swap_pc_i64 s[30:31], s[4:5]
	s_or_b32 s34, s34, exec_lo
.LBB5_91:
	s_branch .LBB5_93
.LBB5_92:
	s_get_pc_i64 s[0:1]
	s_add_nc_u64 s[0:1], s[0:1], .str.2@rel64+4
	s_get_pc_i64 s[2:3]
	s_add_nc_u64 s[2:3], s[2:3], __PRETTY_FUNCTION__._ZN9rocsolver6v33100L18potf2_kernel_smallI19rocblas_complex_numIfEllPKPS3_EEvbT0_T2_lS7_lPT1_@rel64+4
	s_wait_xcnt 0x0
	v_dual_mov_b32 v0, s0 :: v_dual_mov_b32 v1, s1
	v_dual_mov_b32 v2, 0x12b :: v_dual_mov_b32 v3, s2
	v_mov_b32_e32 v4, s3
	s_add_nc_u64 s[8:9], s[22:23], 56
	s_get_pc_i64 s[4:5]
	s_add_nc_u64 s[4:5], s[4:5], __assert_fail@rel64+4
	s_delay_alu instid0(SALU_CYCLE_1)
	s_swap_pc_i64 s[30:31], s[4:5]
	s_or_b32 s34, s34, exec_lo
.LBB5_93:
	s_wait_xcnt 0x0
	s_and_saveexec_b32 s0, s34
; %bb.94:
	; divergent unreachable
; %bb.95:
	s_endpgm
	.section	.rodata,"a",@progbits
	.p2align	6, 0x0
	.amdhsa_kernel _ZN9rocsolver6v33100L18potf2_kernel_smallI19rocblas_complex_numIfEllPKPS3_EEvbT0_T2_lS7_lPT1_
		.amdhsa_group_segment_fixed_size 0
		.amdhsa_private_segment_fixed_size 64
		.amdhsa_kernarg_size 312
		.amdhsa_user_sgpr_count 2
		.amdhsa_user_sgpr_dispatch_ptr 0
		.amdhsa_user_sgpr_queue_ptr 0
		.amdhsa_user_sgpr_kernarg_segment_ptr 1
		.amdhsa_user_sgpr_dispatch_id 0
		.amdhsa_user_sgpr_kernarg_preload_length 0
		.amdhsa_user_sgpr_kernarg_preload_offset 0
		.amdhsa_user_sgpr_private_segment_size 0
		.amdhsa_wavefront_size32 1
		.amdhsa_uses_dynamic_stack 0
		.amdhsa_enable_private_segment 1
		.amdhsa_system_sgpr_workgroup_id_x 1
		.amdhsa_system_sgpr_workgroup_id_y 0
		.amdhsa_system_sgpr_workgroup_id_z 1
		.amdhsa_system_sgpr_workgroup_info 0
		.amdhsa_system_vgpr_workitem_id 2
		.amdhsa_next_free_vgpr 53
		.amdhsa_next_free_sgpr 45
		.amdhsa_named_barrier_count 0
		.amdhsa_reserve_vcc 1
		.amdhsa_float_round_mode_32 0
		.amdhsa_float_round_mode_16_64 0
		.amdhsa_float_denorm_mode_32 3
		.amdhsa_float_denorm_mode_16_64 3
		.amdhsa_fp16_overflow 0
		.amdhsa_memory_ordered 1
		.amdhsa_forward_progress 1
		.amdhsa_inst_pref_size 31
		.amdhsa_round_robin_scheduling 0
		.amdhsa_exception_fp_ieee_invalid_op 0
		.amdhsa_exception_fp_denorm_src 0
		.amdhsa_exception_fp_ieee_div_zero 0
		.amdhsa_exception_fp_ieee_overflow 0
		.amdhsa_exception_fp_ieee_underflow 0
		.amdhsa_exception_fp_ieee_inexact 0
		.amdhsa_exception_int_div_zero 0
	.end_amdhsa_kernel
	.section	.text._ZN9rocsolver6v33100L18potf2_kernel_smallI19rocblas_complex_numIfEllPKPS3_EEvbT0_T2_lS7_lPT1_,"axG",@progbits,_ZN9rocsolver6v33100L18potf2_kernel_smallI19rocblas_complex_numIfEllPKPS3_EEvbT0_T2_lS7_lPT1_,comdat
.Lfunc_end5:
	.size	_ZN9rocsolver6v33100L18potf2_kernel_smallI19rocblas_complex_numIfEllPKPS3_EEvbT0_T2_lS7_lPT1_, .Lfunc_end5-_ZN9rocsolver6v33100L18potf2_kernel_smallI19rocblas_complex_numIfEllPKPS3_EEvbT0_T2_lS7_lPT1_
                                        ; -- End function
	.set _ZN9rocsolver6v33100L18potf2_kernel_smallI19rocblas_complex_numIfEllPKPS3_EEvbT0_T2_lS7_lPT1_.num_vgpr, max(48, .L__assert_fail.num_vgpr)
	.set _ZN9rocsolver6v33100L18potf2_kernel_smallI19rocblas_complex_numIfEllPKPS3_EEvbT0_T2_lS7_lPT1_.num_agpr, max(0, .L__assert_fail.num_agpr)
	.set _ZN9rocsolver6v33100L18potf2_kernel_smallI19rocblas_complex_numIfEllPKPS3_EEvbT0_T2_lS7_lPT1_.numbered_sgpr, max(45, .L__assert_fail.numbered_sgpr)
	.set _ZN9rocsolver6v33100L18potf2_kernel_smallI19rocblas_complex_numIfEllPKPS3_EEvbT0_T2_lS7_lPT1_.num_named_barrier, max(0, .L__assert_fail.num_named_barrier)
	.set _ZN9rocsolver6v33100L18potf2_kernel_smallI19rocblas_complex_numIfEllPKPS3_EEvbT0_T2_lS7_lPT1_.private_seg_size, 0+max(.L__assert_fail.private_seg_size)
	.set _ZN9rocsolver6v33100L18potf2_kernel_smallI19rocblas_complex_numIfEllPKPS3_EEvbT0_T2_lS7_lPT1_.uses_vcc, or(1, .L__assert_fail.uses_vcc)
	.set _ZN9rocsolver6v33100L18potf2_kernel_smallI19rocblas_complex_numIfEllPKPS3_EEvbT0_T2_lS7_lPT1_.uses_flat_scratch, or(0, .L__assert_fail.uses_flat_scratch)
	.set _ZN9rocsolver6v33100L18potf2_kernel_smallI19rocblas_complex_numIfEllPKPS3_EEvbT0_T2_lS7_lPT1_.has_dyn_sized_stack, or(0, .L__assert_fail.has_dyn_sized_stack)
	.set _ZN9rocsolver6v33100L18potf2_kernel_smallI19rocblas_complex_numIfEllPKPS3_EEvbT0_T2_lS7_lPT1_.has_recursion, or(0, .L__assert_fail.has_recursion)
	.set _ZN9rocsolver6v33100L18potf2_kernel_smallI19rocblas_complex_numIfEllPKPS3_EEvbT0_T2_lS7_lPT1_.has_indirect_call, or(0, .L__assert_fail.has_indirect_call)
	.section	.AMDGPU.csdata,"",@progbits
; Kernel info:
; codeLenInByte = 3908
; TotalNumSgprs: 47
; NumVgprs: 53
; ScratchSize: 64
; MemoryBound: 0
; FloatMode: 240
; IeeeMode: 1
; LDSByteSize: 0 bytes/workgroup (compile time only)
; SGPRBlocks: 0
; VGPRBlocks: 3
; NumSGPRsForWavesPerEU: 47
; NumVGPRsForWavesPerEU: 53
; NamedBarCnt: 0
; Occupancy: 16
; WaveLimiterHint : 1
; COMPUTE_PGM_RSRC2:SCRATCH_EN: 1
; COMPUTE_PGM_RSRC2:USER_SGPR: 2
; COMPUTE_PGM_RSRC2:TRAP_HANDLER: 0
; COMPUTE_PGM_RSRC2:TGID_X_EN: 1
; COMPUTE_PGM_RSRC2:TGID_Y_EN: 0
; COMPUTE_PGM_RSRC2:TGID_Z_EN: 1
; COMPUTE_PGM_RSRC2:TIDIG_COMP_CNT: 2
	.section	.text._ZN9rocsolver6v33100L18potf2_kernel_smallI19rocblas_complex_numIfEliPS3_EEvbT0_T2_lS5_lPT1_,"axG",@progbits,_ZN9rocsolver6v33100L18potf2_kernel_smallI19rocblas_complex_numIfEliPS3_EEvbT0_T2_lS5_lPT1_,comdat
	.globl	_ZN9rocsolver6v33100L18potf2_kernel_smallI19rocblas_complex_numIfEliPS3_EEvbT0_T2_lS5_lPT1_ ; -- Begin function _ZN9rocsolver6v33100L18potf2_kernel_smallI19rocblas_complex_numIfEliPS3_EEvbT0_T2_lS5_lPT1_
	.p2align	8
	.type	_ZN9rocsolver6v33100L18potf2_kernel_smallI19rocblas_complex_numIfEliPS3_EEvbT0_T2_lS5_lPT1_,@function
_ZN9rocsolver6v33100L18potf2_kernel_smallI19rocblas_complex_numIfEliPS3_EEvbT0_T2_lS5_lPT1_: ; @_ZN9rocsolver6v33100L18potf2_kernel_smallI19rocblas_complex_numIfEliPS3_EEvbT0_T2_lS5_lPT1_
; %bb.0:
	s_load_b64 s[28:29], s[0:1], 0x44
	v_mov_b32_e32 v41, v0
	s_mov_b64 s[22:23], s[0:1]
	s_mov_b32 s32, 0
	s_wait_kmcnt 0x0
	s_and_b32 s0, s29, 0xffff
	s_delay_alu instid0(SALU_CYCLE_1)
	s_cmp_eq_u32 s0, 1
	s_cbranch_scc1 .LBB6_2
; %bb.1:
	s_get_pc_i64 s[0:1]
	s_add_nc_u64 s[0:1], s[0:1], .str@rel64+4
	s_get_pc_i64 s[2:3]
	s_add_nc_u64 s[2:3], s[2:3], __PRETTY_FUNCTION__._ZN9rocsolver6v33100L18potf2_kernel_smallI19rocblas_complex_numIfEliPS3_EEvbT0_T2_lS5_lPT1_@rel64+4
	v_dual_mov_b32 v0, s0 :: v_dual_mov_b32 v1, s1
	v_dual_mov_b32 v2, 0x125 :: v_dual_mov_b32 v3, s2
	v_mov_b32_e32 v4, s3
	s_add_nc_u64 s[8:9], s[22:23], 56
	s_get_pc_i64 s[4:5]
	s_add_nc_u64 s[4:5], s[4:5], __assert_fail@rel64+4
	s_delay_alu instid0(SALU_CYCLE_1)
	s_swap_pc_i64 s[30:31], s[4:5]
	s_mov_b32 s46, -1
	s_cbranch_execz .LBB6_3
	s_branch .LBB6_106
.LBB6_2:
	s_mov_b32 s46, 0
.LBB6_3:
	s_load_b256 s[36:43], s[22:23], 0x8
	s_wait_kmcnt 0x0
	s_cmp_lg_u64 s[38:39], 0
	s_cbranch_scc0 .LBB6_9
; %bb.4:
	s_load_b128 s[24:27], s[22:23], 0x28
	s_wait_kmcnt 0x0
	s_cmp_lg_u64 s[26:27], 0
	s_cbranch_scc0 .LBB6_10
; %bb.5:
	s_cmp_lg_u64 s[38:39], 0
	s_cbranch_scc0 .LBB6_11
; %bb.6:
	s_load_b32 s1, s[22:23], 0x0
	s_bfe_u32 s3, ttmp6, 0x40014
	s_lshr_b32 s2, ttmp7, 16
	s_add_co_i32 s3, s3, 1
	s_bfe_u32 s4, ttmp6, 0x40008
	s_mul_i32 s3, s2, s3
	s_getreg_b32 s5, hwreg(HW_REG_IB_STS2, 6, 4)
	v_bfe_u32 v44, v41, 10, 10
	v_mov_b32_e32 v45, 0
	s_add_co_i32 s4, s4, s3
	s_cmp_eq_u32 s5, 0
	v_and_b32_e32 v42, 0x3ff, v41
	s_cselect_b32 s44, s2, s4
	v_cmp_gt_i64_e64 s21, s[36:37], v[44:45]
	s_mov_b32 s45, 0
	s_mov_b32 s0, -1
	s_mul_u64 s[34:35], s[24:25], s[44:45]
	s_wait_storecnt 0x0
	s_barrier_signal -1
	s_barrier_wait -1
	s_wait_kmcnt 0x0
	s_bitcmp1_b32 s1, 0
	s_cselect_b32 s1, -1, 0
	s_lshr_b32 s24, s28, 16
	s_xor_b32 s48, s1, -1
	s_and_b32 s28, s28, 0xffff
	s_and_b32 vcc_lo, exec_lo, s48
	s_cbranch_vccnz .LBB6_12
; %bb.7:
	s_and_b32 vcc_lo, exec_lo, s0
	s_cbranch_vccnz .LBB6_27
.LBB6_8:
	s_and_saveexec_b32 s47, s45
	s_cbranch_execnz .LBB6_34
	s_branch .LBB6_100
.LBB6_9:
	s_cbranch_execnz .LBB6_105
	s_branch .LBB6_106
.LBB6_10:
	s_cbranch_execnz .LBB6_103
	s_branch .LBB6_104
.LBB6_11:
	s_cbranch_execnz .LBB6_101
	s_branch .LBB6_102
.LBB6_12:
	s_mov_b32 s45, -1
	s_and_saveexec_b32 s47, s21
	s_cbranch_execz .LBB6_26
; %bb.13:
	v_mul_u64_e32 v[0:1], s[42:43], v[44:45]
	v_mov_b32_e32 v43, 0
	s_lshl_b64 s[0:1], s[34:35], 3
	s_lshl_b64 s[2:3], s[40:41], 3
	v_add_lshl_u32 v2, v44, v42, 3
	s_add_nc_u64 s[0:1], s[2:3], s[0:1]
	v_mov_b32_e32 v3, v43
	v_mov_b64_e32 v[4:5], v[44:45]
	s_mov_b32 s29, 0
	s_lshl_b32 s6, s28, 3
	s_mov_b32 s25, s29
	s_mov_b32 s7, s29
	;; [unrolled: 1-line block ×3, first 2 shown]
                                        ; implicit-def: $sgpr9
	v_lshl_add_u64 v[0:1], v[0:1], 3, s[0:1]
	s_lshl_b64 s[0:1], s[36:37], 1
	s_delay_alu instid0(SALU_CYCLE_1) | instskip(SKIP_1) | instid1(VALU_DEP_1)
	s_or_b64 s[2:3], s[0:1], 1
	s_lshl_b64 s[0:1], s[42:43], 3
	v_add_nc_u64_e32 v[2:3], v[0:1], v[2:3]
	v_dual_mov_b32 v1, v43 :: v_dual_add_nc_u32 v0, v44, v42
	s_add_nc_u64 s[0:1], s[0:1], 8
	s_delay_alu instid0(SALU_CYCLE_1) | instskip(NEXT) | instid1(VALU_DEP_2)
	s_mul_u64 s[4:5], s[0:1], s[24:25]
                                        ; implicit-def: $sgpr1
	v_add_nc_u64_e32 v[2:3], s[38:39], v[2:3]
	s_branch .LBB6_15
.LBB6_14:                               ;   in Loop: Header=BB6_15 Depth=1
	s_or_b32 exec_lo, exec_lo, s10
	s_delay_alu instid0(SALU_CYCLE_1) | instskip(NEXT) | instid1(SALU_CYCLE_1)
	s_and_b32 s0, exec_lo, s0
	s_or_b32 s8, s0, s8
	s_and_not1_b32 s0, s1, exec_lo
	s_and_b32 s1, s9, exec_lo
	s_delay_alu instid0(SALU_CYCLE_1)
	s_or_b32 s1, s0, s1
	s_and_not1_b32 exec_lo, exec_lo, s8
	s_cbranch_execz .LBB6_23
.LBB6_15:                               ; =>This Loop Header: Depth=1
                                        ;     Child Loop BB6_18 Depth 2
	v_add_nc_u64_e32 v[6:7], v[4:5], v[42:43]
	s_mov_b32 s11, -1
	s_mov_b32 s10, exec_lo
	s_delay_alu instid0(VALU_DEP_1)
	v_cmpx_gt_i64_e64 s[36:37], v[6:7]
	s_cbranch_execz .LBB6_21
; %bb.16:                               ;   in Loop: Header=BB6_15 Depth=1
	v_sub_nc_u64_e32 v[8:9], s[2:3], v[4:5]
	s_mov_b32 s11, 0
	v_cmp_ge_u64_e32 vcc_lo, v[0:1], v[4:5]
                                        ; implicit-def: $sgpr12
                                        ; implicit-def: $sgpr14
                                        ; implicit-def: $sgpr13
	s_delay_alu instid0(VALU_DEP_2) | instskip(NEXT) | instid1(VALU_DEP_1)
	v_mul_u64_e32 v[8:9], v[8:9], v[4:5]
	v_lshrrev_b32_e32 v9, 31, v9
	s_delay_alu instid0(VALU_DEP_1) | instskip(NEXT) | instid1(VALU_DEP_1)
	v_add_nc_u32_e32 v8, v8, v9
	v_lshrrev_b32_e32 v8, 1, v8
	s_delay_alu instid0(VALU_DEP_1) | instskip(NEXT) | instid1(VALU_DEP_1)
	v_add_nc_u32_e32 v8, v42, v8
	v_lshl_add_u32 v10, v8, 3, 0
	v_mov_b64_e32 v[8:9], v[2:3]
	s_branch .LBB6_18
.LBB6_17:                               ;   in Loop: Header=BB6_18 Depth=2
	s_or_b32 exec_lo, exec_lo, s15
	s_xor_b32 s0, s13, -1
	s_and_b32 s15, exec_lo, s14
	s_delay_alu instid0(SALU_CYCLE_1) | instskip(SKIP_2) | instid1(SALU_CYCLE_1)
	s_or_b32 s11, s15, s11
	s_and_not1_b32 s12, s12, exec_lo
	s_and_b32 s0, s0, exec_lo
	s_or_b32 s12, s12, s0
	s_and_not1_b32 exec_lo, exec_lo, s11
	s_cbranch_execz .LBB6_20
.LBB6_18:                               ;   Parent Loop BB6_15 Depth=1
                                        ; =>  This Inner Loop Header: Depth=2
	s_or_b32 s13, s13, exec_lo
	s_or_b32 s14, s14, exec_lo
	s_and_saveexec_b32 s15, vcc_lo
	s_cbranch_execz .LBB6_17
; %bb.19:                               ;   in Loop: Header=BB6_18 Depth=2
	global_load_b64 v[12:13], v[8:9], off
	v_add_nc_u64_e32 v[6:7], s[28:29], v[6:7]
	s_wait_xcnt 0x0
	v_add_nc_u64_e32 v[8:9], s[6:7], v[8:9]
	s_and_not1_b32 s14, s14, exec_lo
	s_and_not1_b32 s13, s13, exec_lo
	s_delay_alu instid0(VALU_DEP_2) | instskip(SKIP_1) | instid1(SALU_CYCLE_1)
	v_cmp_le_i64_e64 s0, s[36:37], v[6:7]
	s_and_b32 s0, s0, exec_lo
	s_or_b32 s14, s14, s0
	s_wait_loadcnt 0x0
	ds_store_2addr_b32 v10, v12, v13 offset1:1
	v_add_nc_u32_e32 v10, s6, v10
	s_branch .LBB6_17
.LBB6_20:                               ;   in Loop: Header=BB6_15 Depth=1
	s_or_b32 exec_lo, exec_lo, s11
	s_delay_alu instid0(SALU_CYCLE_1)
	s_or_not1_b32 s11, s12, exec_lo
.LBB6_21:                               ;   in Loop: Header=BB6_15 Depth=1
	s_or_b32 exec_lo, exec_lo, s10
	s_mov_b32 s0, -1
	s_or_b32 s9, s9, exec_lo
	s_and_saveexec_b32 s10, s11
	s_cbranch_execz .LBB6_14
; %bb.22:                               ;   in Loop: Header=BB6_15 Depth=1
	v_add_nc_u64_e32 v[4:5], s[24:25], v[4:5]
	v_add_nc_u64_e32 v[0:1], s[24:25], v[0:1]
	;; [unrolled: 1-line block ×3, first 2 shown]
	s_and_not1_b32 s9, s9, exec_lo
	s_delay_alu instid0(VALU_DEP_3)
	v_cmp_le_i64_e32 vcc_lo, s[36:37], v[4:5]
	s_or_not1_b32 s0, vcc_lo, exec_lo
	s_branch .LBB6_14
.LBB6_23:
	s_or_b32 exec_lo, exec_lo, s8
	s_mov_b32 s0, -1
	s_mov_b32 s2, s46
	s_and_saveexec_b32 s3, s1
	s_delay_alu instid0(SALU_CYCLE_1)
	s_xor_b32 s25, exec_lo, s3
	s_cbranch_execz .LBB6_25
; %bb.24:
	s_get_pc_i64 s[0:1]
	s_add_nc_u64 s[0:1], s[0:1], .str.10@rel64+4
	s_get_pc_i64 s[2:3]
	s_add_nc_u64 s[2:3], s[2:3], __PRETTY_FUNCTION__._ZN9rocsolver6v33100L9idx_lowerIlEET_S2_S2_S2_@rel64+4
	v_dual_mov_b32 v0, s0 :: v_dual_mov_b32 v1, s1
	v_dual_mov_b32 v2, 0x51 :: v_dual_mov_b32 v3, s2
	v_mov_b32_e32 v4, s3
	s_add_nc_u64 s[8:9], s[22:23], 56
	s_get_pc_i64 s[4:5]
	s_add_nc_u64 s[4:5], s[4:5], __assert_fail@rel64+4
	s_delay_alu instid0(SALU_CYCLE_1)
	s_swap_pc_i64 s[30:31], s[4:5]
	s_or_b32 s2, s46, exec_lo
	s_xor_b32 s0, exec_lo, -1
.LBB6_25:
	s_or_b32 exec_lo, exec_lo, s25
	s_delay_alu instid0(SALU_CYCLE_1)
	s_and_not1_b32 s1, s46, exec_lo
	s_and_b32 s2, s2, exec_lo
	s_or_not1_b32 s45, s0, exec_lo
	s_or_b32 s46, s1, s2
.LBB6_26:
	s_or_b32 exec_lo, exec_lo, s47
	s_branch .LBB6_8
.LBB6_27:
	s_and_saveexec_b32 s4, s21
	s_cbranch_execz .LBB6_33
; %bb.28:
	v_mul_u64_e32 v[0:1], s[42:43], v[44:45]
	v_dual_mov_b32 v43, 0 :: v_dual_lshlrev_b32 v2, 3, v42
	s_lshl_b64 s[0:1], s[34:35], 3
	s_lshl_b64 s[2:3], s[40:41], 3
	s_delay_alu instid0(VALU_DEP_1)
	v_dual_mov_b32 v3, v43 :: v_dual_sub_nc_u32 v12, v44, v42
	s_add_nc_u64 s[0:1], s[2:3], s[0:1]
	s_mov_b32 s29, 0
	s_lshl_b32 s2, s28, 3
	s_mov_b32 s25, s29
	s_mov_b32 s3, s29
	;; [unrolled: 1-line block ×3, first 2 shown]
	s_delay_alu instid0(VALU_DEP_3) | instskip(SKIP_1) | instid1(VALU_DEP_1)
	v_lshl_add_u64 v[0:1], v[0:1], 3, s[0:1]
	s_lshl_b64 s[0:1], s[36:37], 1
	v_add_nc_u64_e32 v[0:1], v[0:1], v[2:3]
	v_sub_nc_u64_e32 v[2:3], s[0:1], v[42:43]
	s_mul_u64 s[0:1], s[42:43], s[24:25]
	s_delay_alu instid0(SALU_CYCLE_1) | instskip(NEXT) | instid1(VALU_DEP_2)
	s_lshl_b64 s[0:1], s[0:1], 3
	v_add_nc_u64_e32 v[4:5], s[38:39], v[0:1]
	s_delay_alu instid0(VALU_DEP_2) | instskip(NEXT) | instid1(VALU_DEP_2)
	v_add_nc_u64_e32 v[0:1], 1, v[2:3]
	v_add_nc_u64_e32 v[2:3], 4, v[4:5]
	v_mov_b64_e32 v[4:5], v[44:45]
	s_branch .LBB6_30
.LBB6_29:                               ;   in Loop: Header=BB6_30 Depth=1
	s_or_b32 exec_lo, exec_lo, s6
	v_add_nc_u64_e32 v[4:5], s[24:25], v[4:5]
	v_add_nc_u64_e32 v[2:3], s[0:1], v[2:3]
	v_add_nc_u32_e32 v12, s24, v12
	s_delay_alu instid0(VALU_DEP_3) | instskip(SKIP_1) | instid1(SALU_CYCLE_1)
	v_cmp_le_i64_e32 vcc_lo, s[36:37], v[4:5]
	s_or_b32 s5, vcc_lo, s5
	s_and_not1_b32 exec_lo, exec_lo, s5
	s_cbranch_execz .LBB6_33
.LBB6_30:                               ; =>This Loop Header: Depth=1
                                        ;     Child Loop BB6_32 Depth 2
	s_mov_b32 s6, exec_lo
	s_delay_alu instid0(VALU_DEP_1)
	v_cmpx_ge_u64_e64 v[4:5], v[42:43]
	s_cbranch_execz .LBB6_29
; %bb.31:                               ;   in Loop: Header=BB6_30 Depth=1
	s_delay_alu instid0(VALU_DEP_3)
	v_mov_b64_e32 v[6:7], v[2:3]
	v_mov_b64_e32 v[8:9], v[0:1]
	;; [unrolled: 1-line block ×3, first 2 shown]
	v_mov_b32_e32 v13, v12
	s_mov_b32 s7, 0
.LBB6_32:                               ;   Parent Loop BB6_30 Depth=1
                                        ; =>  This Inner Loop Header: Depth=2
	global_load_b64 v[14:15], v[6:7], off offset:-4
	v_mul_u64_e32 v[16:17], v[8:9], v[10:11]
	v_add_nc_u64_e32 v[10:11], s[28:29], v[10:11]
	v_sub_nc_u64_e64 v[8:9], v[8:9], s[28:29]
	s_wait_xcnt 0x0
	v_add_nc_u64_e32 v[6:7], s[2:3], v[6:7]
	s_delay_alu instid0(VALU_DEP_3) | instskip(SKIP_2) | instid1(VALU_DEP_1)
	v_cmp_gt_u64_e32 vcc_lo, v[10:11], v[4:5]
	s_or_b32 s7, vcc_lo, s7
	v_lshrrev_b32_e32 v17, 31, v17
	v_add_nc_u32_e32 v16, v16, v17
	s_delay_alu instid0(VALU_DEP_1) | instskip(NEXT) | instid1(VALU_DEP_1)
	v_lshrrev_b32_e32 v16, 1, v16
	v_add_nc_u32_e32 v16, v13, v16
	v_subrev_nc_u32_e32 v13, s28, v13
	s_delay_alu instid0(VALU_DEP_2)
	v_lshl_add_u32 v16, v16, 3, 0
	s_wait_loadcnt 0x0
	v_xor_b32_e32 v15, 0x80000000, v15
	ds_store_2addr_b32 v16, v14, v15 offset1:1
	s_and_not1_b32 exec_lo, exec_lo, s7
	s_cbranch_execnz .LBB6_32
	s_branch .LBB6_29
.LBB6_33:
	s_or_b32 exec_lo, exec_lo, s4
	s_mov_b32 s45, -1
	s_delay_alu instid0(SALU_CYCLE_1)
	s_and_saveexec_b32 s47, s45
	s_cbranch_execz .LBB6_100
.LBB6_34:
	v_cmp_lt_i64_e64 s0, s[36:37], 1
	s_wait_storecnt_dscnt 0x0
	s_barrier_signal -1
	s_barrier_wait -1
	s_and_b32 vcc_lo, exec_lo, s0
	s_cbranch_vccnz .LBB6_59
; %bb.35:
	v_mad_u32_u24 v0, v44, s28, v42
	v_bfe_u32 v1, v41, 20, 10
	s_mul_i32 s2, s24, s28
	s_lshl_b64 s[0:1], s[36:37], 1
	s_lshl_b32 s4, s44, 2
	s_or_b64 s[8:9], s[0:1], 1
	v_mad_u32 v0, s2, v1, v0
	v_dual_mov_b32 v1, 0 :: v_dual_sub_nc_u32 v12, v42, v44
	s_mov_b32 s5, 0
	s_lshl_b32 s20, s2, 3
	s_add_nc_u64 s[6:7], s[26:27], s[4:5]
	s_delay_alu instid0(VALU_DEP_1) | instskip(SKIP_4) | instid1(VALU_DEP_3)
	v_mov_b32_e32 v43, v1
	s_mov_b32 s3, s5
	s_mov_b32 s29, s5
	s_mov_b32 s25, s5
	s_lshl_b32 s26, s28, 3
	v_cmp_eq_u32_e64 s0, 0, v0
	s_mov_b64 s[14:15], 0
	s_mov_b64 s[10:11], 0
	s_branch .LBB6_37
.LBB6_36:                               ;   in Loop: Header=BB6_37 Depth=1
	s_and_not1_b32 vcc_lo, exec_lo, s1
	s_mov_b64 s[10:11], s[12:13]
	s_cbranch_vccz .LBB6_59
.LBB6_37:                               ; =>This Loop Header: Depth=1
                                        ;     Child Loop BB6_48 Depth 2
                                        ;     Child Loop BB6_52 Depth 2
                                        ;       Child Loop BB6_55 Depth 3
	s_add_nc_u64 s[12:13], s[14:15], s[8:9]
	s_delay_alu instid0(SALU_CYCLE_1) | instskip(NEXT) | instid1(SALU_CYCLE_1)
	s_mul_u64 s[12:13], s[12:13], s[10:11]
	s_lshr_b32 s4, s13, 31
	s_delay_alu instid0(SALU_CYCLE_1) | instskip(NEXT) | instid1(SALU_CYCLE_1)
	s_add_nc_u64 s[12:13], s[12:13], s[4:5]
	s_ashr_i64 s[16:17], s[12:13], 1
	s_mov_b32 s12, -1
	s_lshl_b32 s1, s16, 3
	s_delay_alu instid0(SALU_CYCLE_1) | instskip(NEXT) | instid1(SALU_CYCLE_1)
	s_add_co_i32 s1, s1, 0
	v_mov_b32_e32 v2, s1
	ds_load_b32 v2, v2
	s_wait_dscnt 0x0
	v_cmp_class_f32_e64 s4, v2, 0x180
	v_readfirstlane_b32 s18, v2
	s_and_b32 vcc_lo, exec_lo, s4
	s_cbranch_vccz .LBB6_40
; %bb.38:                               ;   in Loop: Header=BB6_37 Depth=1
	s_and_not1_b32 vcc_lo, exec_lo, s12
	s_add_nc_u64 s[12:13], s[10:11], 1
	s_cbranch_vccz .LBB6_44
.LBB6_39:                               ;   in Loop: Header=BB6_37 Depth=1
	s_and_b32 vcc_lo, exec_lo, s4
	s_mov_b32 s1, -1
                                        ; implicit-def: $sgpr14_sgpr15
	s_cbranch_vccz .LBB6_36
	s_branch .LBB6_58
.LBB6_40:                               ;   in Loop: Header=BB6_37 Depth=1
	s_and_saveexec_b32 s12, s0
	s_cbranch_execz .LBB6_43
; %bb.41:                               ;   in Loop: Header=BB6_37 Depth=1
	global_load_b32 v2, v1, s[6:7]
	s_wait_loadcnt 0x0
	v_cmp_ne_u32_e32 vcc_lo, 0, v2
	v_mov_b32_e32 v2, s1
	ds_store_b32 v2, v1 offset:4
	s_cbranch_vccnz .LBB6_43
; %bb.42:                               ;   in Loop: Header=BB6_37 Depth=1
	s_add_co_i32 s13, s10, 1
	s_delay_alu instid0(SALU_CYCLE_1)
	v_mov_b32_e32 v2, s13
	global_store_b32 v1, v2, s[6:7]
.LBB6_43:                               ;   in Loop: Header=BB6_37 Depth=1
	s_wait_xcnt 0x0
	s_or_b32 exec_lo, exec_lo, s12
	s_add_nc_u64 s[12:13], s[10:11], 1
	s_cbranch_execnz .LBB6_39
.LBB6_44:                               ;   in Loop: Header=BB6_37 Depth=1
	s_mul_f32 s19, s18, 0x4f800000
	s_cmp_lt_f32 s18, 0xf800000
	s_delay_alu instid0(SALU_CYCLE_2) | instskip(NEXT) | instid1(SALU_CYCLE_1)
	s_cselect_b32 s19, s19, s18
	v_s_sqrt_f32 s27, s19
	s_mov_b32 s31, s19
	s_delay_alu instid0(TRANS32_DEP_1) | instskip(NEXT) | instid1(SALU_CYCLE_1)
	s_add_co_i32 s30, s27, -1
	s_xor_b32 s33, s30, 0x80000000
	s_delay_alu instid0(SALU_CYCLE_1) | instskip(SKIP_1) | instid1(SALU_CYCLE_2)
	s_fmac_f32 s31, s33, s27
	s_mov_b32 s33, s19
	s_cmp_le_f32 s31, 0
	s_cselect_b32 s30, s30, s27
	s_add_co_i32 s31, s27, 1
	s_delay_alu instid0(SALU_CYCLE_1) | instskip(NEXT) | instid1(SALU_CYCLE_1)
	s_xor_b32 s44, s31, 0x80000000
	s_fmac_f32 s33, s44, s27
	s_delay_alu instid0(SALU_CYCLE_3) | instskip(SKIP_4) | instid1(SALU_CYCLE_2)
	s_cmp_gt_f32 s33, 0
	s_cselect_b32 s27, s31, s30
	s_cmp_lt_f32 s18, 0xf800000
	s_mul_f32 s18, s27, 0x37800000
	v_cmp_class_f32_e64 s30, s19, 0x260
	s_cselect_b32 s18, s18, s27
	s_and_b32 s27, s30, exec_lo
	s_cselect_b32 s27, s19, s18
	s_and_saveexec_b32 s18, s0
; %bb.45:                               ;   in Loop: Header=BB6_37 Depth=1
	v_dual_mov_b32 v2, s1 :: v_dual_mov_b32 v3, s27
	ds_store_2addr_b32 v2, v3, v1 offset1:1
; %bb.46:                               ;   in Loop: Header=BB6_37 Depth=1
	s_or_b32 exec_lo, exec_lo, s18
	s_add_nc_u64 s[18:19], s[10:11], 1
	s_mov_b32 s1, exec_lo
	v_add_nc_u64_e32 v[2:3], s[18:19], v[0:1]
	s_wait_storecnt_dscnt 0x0
	s_barrier_signal -1
	s_barrier_wait -1
	s_delay_alu instid0(VALU_DEP_1)
	v_cmpx_gt_i64_e64 s[36:37], v[2:3]
	s_cbranch_execz .LBB6_49
; %bb.47:                               ;   in Loop: Header=BB6_37 Depth=1
	v_div_scale_f32 v4, null, s27, s27, 0
	v_div_scale_f32 v7, vcc_lo, 0, s27, 0
	s_delay_alu instid0(VALU_DEP_2)
	v_rcp_f32_e32 v5, v4
	v_nop
	v_xor_b32_e32 v4, 0x80000000, v4
	s_delay_alu instid0(TRANS32_DEP_1) | instid1(VALU_DEP_1)
	v_fma_f32 v6, v4, v5, 1.0
	s_delay_alu instid0(VALU_DEP_1) | instskip(NEXT) | instid1(VALU_DEP_1)
	v_fmac_f32_e32 v5, v6, v5
	v_mul_f32_e32 v6, v7, v5
	s_delay_alu instid0(VALU_DEP_1) | instskip(NEXT) | instid1(VALU_DEP_1)
	v_fma_f32 v8, v4, v6, v7
	v_fmac_f32_e32 v6, v8, v5
	s_delay_alu instid0(VALU_DEP_1) | instskip(NEXT) | instid1(VALU_DEP_1)
	v_fmac_f32_e32 v7, v4, v6
	v_div_fmas_f32 v4, v7, v5, v6
	s_delay_alu instid0(VALU_DEP_1) | instskip(NEXT) | instid1(VALU_DEP_1)
	v_div_fixup_f32 v4, v4, s27, 0
	v_fma_f32 v5, v4, 0, s27
	s_mov_b32 s27, 0
	s_delay_alu instid0(VALU_DEP_1) | instskip(SKIP_1) | instid1(VALU_DEP_2)
	v_div_scale_f32 v6, null, v5, v5, 1.0
	v_div_scale_f32 v9, vcc_lo, 1.0, v5, 1.0
	v_rcp_f32_e32 v7, v6
	v_nop
	v_xor_b32_e32 v6, 0x80000000, v6
	s_delay_alu instid0(TRANS32_DEP_1) | instid1(VALU_DEP_1)
	v_fma_f32 v8, v6, v7, 1.0
	s_delay_alu instid0(VALU_DEP_1) | instskip(NEXT) | instid1(VALU_DEP_1)
	v_fmac_f32_e32 v7, v8, v7
	v_mul_f32_e32 v8, v9, v7
	s_delay_alu instid0(VALU_DEP_1) | instskip(NEXT) | instid1(VALU_DEP_1)
	v_fma_f32 v10, v6, v8, v9
	v_fmac_f32_e32 v8, v10, v7
	s_delay_alu instid0(VALU_DEP_1) | instskip(NEXT) | instid1(VALU_DEP_1)
	v_fmac_f32_e32 v9, v6, v8
	v_div_fmas_f32 v6, v9, v7, v8
	v_add_lshl_u32 v8, v0, s16, 3
	s_delay_alu instid0(VALU_DEP_2) | instskip(SKIP_1) | instid1(VALU_DEP_3)
	v_div_fixup_f32 v6, v6, v5, 1.0
	v_mov_b32_e32 v5, v4
	v_add3_u32 v8, 0, 8, v8
	s_delay_alu instid0(VALU_DEP_3)
	v_mov_b32_e32 v7, v6
.LBB6_48:                               ;   Parent Loop BB6_37 Depth=1
                                        ; =>  This Inner Loop Header: Depth=2
	ds_load_2addr_b32 v[10:11], v8 offset1:1
	v_add_nc_u64_e32 v[2:3], s[2:3], v[2:3]
	s_delay_alu instid0(VALU_DEP_1) | instskip(SKIP_4) | instid1(VALU_DEP_2)
	v_cmp_le_i64_e32 vcc_lo, s[36:37], v[2:3]
	s_or_b32 s27, vcc_lo, s27
	s_wait_dscnt 0x0
	v_pk_fma_f32 v[14:15], v[4:5], v[10:11], v[10:11] op_sel:[0,1,0] op_sel_hi:[1,0,1] neg_lo:[1,0,0] neg_hi:[1,0,0]
	v_pk_fma_f32 v[10:11], v[4:5], v[10:11], v[10:11] op_sel:[0,1,0] op_sel_hi:[1,0,1]
	v_mov_b32_e32 v11, v15
	s_delay_alu instid0(VALU_DEP_1)
	v_pk_mul_f32 v[10:11], v[6:7], v[10:11]
	ds_store_2addr_b32 v8, v10, v11 offset1:1
	v_add_nc_u32_e32 v8, s20, v8
	s_and_not1_b32 exec_lo, exec_lo, s27
	s_cbranch_execnz .LBB6_48
.LBB6_49:                               ;   in Loop: Header=BB6_37 Depth=1
	s_or_b32 exec_lo, exec_lo, s1
	v_add_nc_u64_e32 v[2:3], s[18:19], v[44:45]
	s_mov_b32 s27, exec_lo
	s_wait_dscnt 0x0
	s_barrier_signal -1
	s_barrier_wait -1
	s_delay_alu instid0(VALU_DEP_1)
	v_cmpx_gt_i64_e64 s[36:37], v[2:3]
	s_cbranch_execz .LBB6_57
; %bb.50:                               ;   in Loop: Header=BB6_37 Depth=1
	v_add_nc_u64_e32 v[4:5], s[18:19], v[42:43]
	v_add_lshl_u32 v13, v42, s16, 3
	v_mov_b32_e32 v14, v12
	s_add_nc_u64 s[14:15], s[16:17], s[14:15]
	s_mov_b32 s15, 0
	s_delay_alu instid0(VALU_DEP_3)
	v_cmp_gt_i64_e32 vcc_lo, s[36:37], v[4:5]
	s_branch .LBB6_52
.LBB6_51:                               ;   in Loop: Header=BB6_52 Depth=2
	s_or_b32 exec_lo, exec_lo, s16
	v_add_nc_u64_e32 v[2:3], s[24:25], v[2:3]
	v_subrev_nc_u32_e32 v14, s24, v14
	s_delay_alu instid0(VALU_DEP_2) | instskip(SKIP_1) | instid1(SALU_CYCLE_1)
	v_cmp_le_i64_e64 s1, s[36:37], v[2:3]
	s_or_b32 s15, s1, s15
	s_and_not1_b32 exec_lo, exec_lo, s15
	s_cbranch_execz .LBB6_57
.LBB6_52:                               ;   Parent Loop BB6_37 Depth=1
                                        ; =>  This Loop Header: Depth=2
                                        ;       Child Loop BB6_55 Depth 3
	s_and_saveexec_b32 s16, vcc_lo
	s_cbranch_execz .LBB6_51
; %bb.53:                               ;   in Loop: Header=BB6_52 Depth=2
	v_sub_nc_u64_e32 v[6:7], s[8:9], v[2:3]
	s_mov_b32 s17, 0
	s_mov_b32 s18, 0
	s_delay_alu instid0(VALU_DEP_1) | instskip(NEXT) | instid1(VALU_DEP_1)
	v_mul_u64_e32 v[8:9], v[6:7], v[2:3]
	v_dual_add_nc_u32 v6, s14, v2 :: v_dual_lshrrev_b32 v9, 31, v9
	s_delay_alu instid0(VALU_DEP_1) | instskip(SKIP_3) | instid1(VALU_DEP_1)
	v_lshl_add_u32 v6, v6, 3, 0
	ds_load_2addr_b32 v[6:7], v6 offset1:1
	s_wait_dscnt 0x0
	v_dual_mov_b32 v9, v6 :: v_dual_add_nc_u32 v8, v8, v9
	v_dual_lshrrev_b32 v10, 1, v8 :: v_dual_mov_b32 v8, v7
	s_delay_alu instid0(VALU_DEP_1)
	v_add_lshl_u32 v15, v14, v10, 3
	v_mov_b64_e32 v[10:11], v[4:5]
	s_branch .LBB6_55
.LBB6_54:                               ;   in Loop: Header=BB6_55 Depth=3
	s_or_b32 exec_lo, exec_lo, s19
	v_add_nc_u64_e32 v[10:11], s[28:29], v[10:11]
	s_add_co_i32 s18, s18, s26
	s_delay_alu instid0(VALU_DEP_1) | instskip(SKIP_1) | instid1(SALU_CYCLE_1)
	v_cmp_le_i64_e64 s1, s[36:37], v[10:11]
	s_or_b32 s17, s1, s17
	s_and_not1_b32 exec_lo, exec_lo, s17
	s_cbranch_execz .LBB6_51
.LBB6_55:                               ;   Parent Loop BB6_37 Depth=1
                                        ;     Parent Loop BB6_52 Depth=2
                                        ; =>    This Inner Loop Header: Depth=3
	s_mov_b32 s19, exec_lo
	s_delay_alu instid0(VALU_DEP_1)
	v_cmpx_ge_u64_e64 v[10:11], v[2:3]
	s_cbranch_execz .LBB6_54
; %bb.56:                               ;   in Loop: Header=BB6_55 Depth=3
	v_dual_add_nc_u32 v16, s18, v13 :: v_dual_add_nc_u32 v23, s18, v15
	ds_load_2addr_b32 v[16:17], v16 offset0:2 offset1:3
	ds_load_2addr_b32 v[18:19], v23 offset1:1
	s_wait_dscnt 0x1
	v_pk_mul_f32 v[20:21], v[6:7], v[16:17] op_sel_hi:[1,0]
	v_mov_b32_e32 v22, v17
	s_delay_alu instid0(VALU_DEP_2) | instskip(NEXT) | instid1(VALU_DEP_2)
	v_pk_fma_f32 v[16:17], v[8:9], v[16:17], v[20:21] op_sel:[0,1,0] neg_lo:[0,0,1] neg_hi:[0,0,1]
	v_pk_fma_f32 v[20:21], v[8:9], v[22:23], v[20:21]
	s_delay_alu instid0(VALU_DEP_2) | instskip(SKIP_1) | instid1(VALU_DEP_1)
	v_mov_b32_e32 v21, v17
	s_wait_dscnt 0x0
	v_pk_add_f32 v[16:17], v[18:19], v[20:21] neg_lo:[0,1] neg_hi:[0,1]
	ds_store_2addr_b32 v23, v16, v17 offset1:1
	s_branch .LBB6_54
.LBB6_57:                               ;   in Loop: Header=BB6_37 Depth=1
	s_or_b32 exec_lo, exec_lo, s27
	s_wait_dscnt 0x0
	s_barrier_signal -1
	s_barrier_wait -1
	s_and_b32 vcc_lo, exec_lo, s4
	s_mov_b32 s1, -1
                                        ; implicit-def: $sgpr14_sgpr15
	s_cbranch_vccz .LBB6_36
.LBB6_58:                               ;   in Loop: Header=BB6_37 Depth=1
	s_not_b64 s[14:15], s[10:11]
	s_cmp_eq_u64 s[12:13], s[36:37]
	s_cselect_b32 s1, -1, 0
	s_branch .LBB6_36
.LBB6_59:
	s_and_not1_b32 vcc_lo, exec_lo, s48
	s_wait_storecnt_dscnt 0x0
	s_barrier_signal -1
	s_barrier_wait -1
	s_cbranch_vccnz .LBB6_71
; %bb.60:
	s_mov_b32 s0, -1
	s_mov_b32 s20, s46
	s_and_saveexec_b32 s26, s21
	s_cbranch_execz .LBB6_75
; %bb.61:
	v_mul_u64_e32 v[0:1], s[42:43], v[44:45]
	v_mov_b32_e32 v43, 0
	s_lshl_b64 s[0:1], s[34:35], 3
	s_lshl_b64 s[2:3], s[40:41], 3
	v_add_lshl_u32 v2, v44, v42, 3
	s_add_nc_u64 s[0:1], s[2:3], s[0:1]
	v_mov_b32_e32 v3, v43
	v_mov_b64_e32 v[4:5], v[44:45]
	s_mov_b32 s29, 0
	s_lshl_b32 s6, s28, 3
	s_mov_b32 s25, s29
	s_mov_b32 s7, s29
	;; [unrolled: 1-line block ×3, first 2 shown]
                                        ; implicit-def: $sgpr9
	v_lshl_add_u64 v[0:1], v[0:1], 3, s[0:1]
	s_lshl_b64 s[0:1], s[36:37], 1
	s_delay_alu instid0(SALU_CYCLE_1) | instskip(SKIP_1) | instid1(VALU_DEP_1)
	s_or_b64 s[2:3], s[0:1], 1
	s_lshl_b64 s[0:1], s[42:43], 3
	v_add_nc_u64_e32 v[2:3], v[0:1], v[2:3]
	v_dual_mov_b32 v1, v43 :: v_dual_add_nc_u32 v0, v44, v42
	s_add_nc_u64 s[0:1], s[0:1], 8
	s_delay_alu instid0(SALU_CYCLE_1) | instskip(NEXT) | instid1(VALU_DEP_2)
	s_mul_u64 s[4:5], s[0:1], s[24:25]
                                        ; implicit-def: $sgpr1
	v_add_nc_u64_e32 v[2:3], s[38:39], v[2:3]
	s_branch .LBB6_63
.LBB6_62:                               ;   in Loop: Header=BB6_63 Depth=1
	s_or_b32 exec_lo, exec_lo, s10
	s_delay_alu instid0(SALU_CYCLE_1) | instskip(NEXT) | instid1(SALU_CYCLE_1)
	s_and_b32 s0, exec_lo, s0
	s_or_b32 s8, s0, s8
	s_and_not1_b32 s0, s1, exec_lo
	s_and_b32 s1, s9, exec_lo
	s_delay_alu instid0(SALU_CYCLE_1)
	s_or_b32 s1, s0, s1
	s_and_not1_b32 exec_lo, exec_lo, s8
	s_cbranch_execz .LBB6_72
.LBB6_63:                               ; =>This Loop Header: Depth=1
                                        ;     Child Loop BB6_66 Depth 2
	v_add_nc_u64_e32 v[6:7], v[4:5], v[42:43]
	s_mov_b32 s11, -1
	s_mov_b32 s10, exec_lo
	s_delay_alu instid0(VALU_DEP_1)
	v_cmpx_gt_i64_e64 s[36:37], v[6:7]
	s_cbranch_execz .LBB6_69
; %bb.64:                               ;   in Loop: Header=BB6_63 Depth=1
	v_sub_nc_u64_e32 v[8:9], s[2:3], v[4:5]
	s_mov_b32 s11, 0
	v_cmp_ge_u64_e32 vcc_lo, v[0:1], v[4:5]
                                        ; implicit-def: $sgpr12
                                        ; implicit-def: $sgpr14
                                        ; implicit-def: $sgpr13
	s_delay_alu instid0(VALU_DEP_2) | instskip(NEXT) | instid1(VALU_DEP_1)
	v_mul_u64_e32 v[8:9], v[8:9], v[4:5]
	v_lshrrev_b32_e32 v9, 31, v9
	s_delay_alu instid0(VALU_DEP_1) | instskip(NEXT) | instid1(VALU_DEP_1)
	v_add_nc_u32_e32 v8, v8, v9
	v_lshrrev_b32_e32 v8, 1, v8
	s_delay_alu instid0(VALU_DEP_1) | instskip(NEXT) | instid1(VALU_DEP_1)
	v_add_nc_u32_e32 v8, v42, v8
	v_lshl_add_u32 v10, v8, 3, 0
	v_mov_b64_e32 v[8:9], v[2:3]
	s_branch .LBB6_66
.LBB6_65:                               ;   in Loop: Header=BB6_66 Depth=2
	s_or_b32 exec_lo, exec_lo, s15
	s_xor_b32 s0, s13, -1
	s_and_b32 s15, exec_lo, s14
	s_delay_alu instid0(SALU_CYCLE_1) | instskip(SKIP_2) | instid1(SALU_CYCLE_1)
	s_or_b32 s11, s15, s11
	s_and_not1_b32 s12, s12, exec_lo
	s_and_b32 s0, s0, exec_lo
	s_or_b32 s12, s12, s0
	s_and_not1_b32 exec_lo, exec_lo, s11
	s_cbranch_execz .LBB6_68
.LBB6_66:                               ;   Parent Loop BB6_63 Depth=1
                                        ; =>  This Inner Loop Header: Depth=2
	s_or_b32 s13, s13, exec_lo
	s_or_b32 s14, s14, exec_lo
	s_and_saveexec_b32 s15, vcc_lo
	s_cbranch_execz .LBB6_65
; %bb.67:                               ;   in Loop: Header=BB6_66 Depth=2
	ds_load_2addr_b32 v[12:13], v10 offset1:1
	v_add_nc_u64_e32 v[6:7], s[28:29], v[6:7]
	v_add_nc_u32_e32 v10, s6, v10
	s_and_not1_b32 s14, s14, exec_lo
	s_and_not1_b32 s13, s13, exec_lo
	s_delay_alu instid0(VALU_DEP_2) | instskip(SKIP_1) | instid1(SALU_CYCLE_1)
	v_cmp_le_i64_e64 s0, s[36:37], v[6:7]
	s_and_b32 s0, s0, exec_lo
	s_or_b32 s14, s14, s0
	s_wait_dscnt 0x0
	global_store_b64 v[8:9], v[12:13], off
	s_wait_xcnt 0x0
	v_add_nc_u64_e32 v[8:9], s[6:7], v[8:9]
	s_branch .LBB6_65
.LBB6_68:                               ;   in Loop: Header=BB6_63 Depth=1
	s_or_b32 exec_lo, exec_lo, s11
	s_delay_alu instid0(SALU_CYCLE_1)
	s_or_not1_b32 s11, s12, exec_lo
.LBB6_69:                               ;   in Loop: Header=BB6_63 Depth=1
	s_or_b32 exec_lo, exec_lo, s10
	s_mov_b32 s0, -1
	s_or_b32 s9, s9, exec_lo
	s_and_saveexec_b32 s10, s11
	s_cbranch_execz .LBB6_62
; %bb.70:                               ;   in Loop: Header=BB6_63 Depth=1
	v_add_nc_u64_e32 v[4:5], s[24:25], v[4:5]
	v_add_nc_u64_e32 v[0:1], s[24:25], v[0:1]
	v_add_nc_u64_e32 v[2:3], s[4:5], v[2:3]
	s_and_not1_b32 s9, s9, exec_lo
	s_delay_alu instid0(VALU_DEP_3)
	v_cmp_le_i64_e32 vcc_lo, s[36:37], v[4:5]
	s_or_not1_b32 s0, vcc_lo, exec_lo
	s_branch .LBB6_62
.LBB6_71:
	s_mov_b32 s1, -1
	s_mov_b32 s0, 0
	s_mov_b32 s20, s46
	s_branch .LBB6_76
.LBB6_72:
	s_or_b32 exec_lo, exec_lo, s8
	s_mov_b32 s0, -1
	s_mov_b32 s2, s46
	s_and_saveexec_b32 s3, s1
	s_delay_alu instid0(SALU_CYCLE_1)
	s_xor_b32 s25, exec_lo, s3
	s_cbranch_execz .LBB6_74
; %bb.73:
	s_get_pc_i64 s[0:1]
	s_add_nc_u64 s[0:1], s[0:1], .str.10@rel64+4
	s_get_pc_i64 s[2:3]
	s_add_nc_u64 s[2:3], s[2:3], __PRETTY_FUNCTION__._ZN9rocsolver6v33100L9idx_lowerIlEET_S2_S2_S2_@rel64+4
	v_dual_mov_b32 v0, s0 :: v_dual_mov_b32 v1, s1
	v_dual_mov_b32 v2, 0x51 :: v_dual_mov_b32 v3, s2
	v_mov_b32_e32 v4, s3
	s_add_nc_u64 s[8:9], s[22:23], 56
	s_get_pc_i64 s[4:5]
	s_add_nc_u64 s[4:5], s[4:5], __assert_fail@rel64+4
	s_delay_alu instid0(SALU_CYCLE_1)
	s_swap_pc_i64 s[30:31], s[4:5]
	s_or_b32 s2, s46, exec_lo
	s_xor_b32 s0, exec_lo, -1
.LBB6_74:
	s_or_b32 exec_lo, exec_lo, s25
	s_delay_alu instid0(SALU_CYCLE_1)
	s_and_not1_b32 s1, s46, exec_lo
	s_and_b32 s2, s2, exec_lo
	s_or_not1_b32 s0, s0, exec_lo
	s_or_b32 s20, s1, s2
.LBB6_75:
	s_or_b32 exec_lo, exec_lo, s26
	s_mov_b32 s1, 0
.LBB6_76:
	s_delay_alu instid0(SALU_CYCLE_1)
	s_and_b32 vcc_lo, exec_lo, s1
	s_cbranch_vccz .LBB6_97
; %bb.77:
	s_and_saveexec_b32 s26, s21
	s_cbranch_execz .LBB6_96
; %bb.78:
	v_mul_u64_e32 v[2:3], s[42:43], v[44:45]
	s_mov_b32 s1, 0
	s_cvt_f32_u32 s6, s28
	s_mov_b32 s25, s1
	s_lshl_b64 s[4:5], s[36:37], 1
	s_mul_u64 s[12:13], s[42:43], s[24:25]
	s_mov_b32 s0, 0x4f800000
	s_or_b64 s[4:5], s[4:5], 1
	s_lshl_b64 s[12:13], s[12:13], 3
	s_fmamk_f32 s0, s0, 0x0, s6
	s_cmp_lg_u32 s28, 1
	v_dual_mov_b32 v10, 0 :: v_dual_add_nc_u32 v12, s28, v42
	s_cselect_b32 s21, -1, 0
	s_lshl_b64 s[16:17], s[34:35], 3
	s_lshl_b64 s[18:19], s[40:41], 3
	v_s_rcp_f32 s0, s0
	s_add_nc_u64 s[16:17], s[18:19], s[16:17]
	v_dual_mov_b32 v0, v42 :: v_dual_lshlrev_b32 v18, 3, v42
	v_dual_mov_b32 v43, v10 :: v_dual_mov_b32 v19, v10
	s_add_nc_u64 s[14:15], s[40:41], s[34:35]
	v_dual_add_nc_u32 v14, 1, v44 :: v_dual_add_nc_u32 v16, 1, v42
	s_delay_alu instid0(TRANS32_DEP_1) | instskip(SKIP_2) | instid1(SALU_CYCLE_1)
	s_mul_f32 s0, s0, 0x5f7ffffc
	v_dual_mov_b32 v13, v10 :: v_dual_mov_b32 v15, v10
	v_sub_nc_u64_e32 v[20:21], 0, v[42:43]
	s_mul_f32 s6, s0, 0x2f800000
	v_dual_mov_b32 v17, v10 :: v_dual_mov_b32 v1, v10
	v_lshl_add_u64 v[4:5], v[2:3], 3, s[16:17]
	v_add_nc_u64_e32 v[6:7], s[14:15], v[2:3]
	s_trunc_f32 s19, s6
	v_mov_b64_e32 v[28:29], v[14:15]
	v_dual_mov_b32 v2, v16 :: v_dual_mov_b32 v3, v10
	v_add_nc_u64_e32 v[8:9], v[4:5], v[18:19]
	s_fmamk_f32 s0, s19, 0xcf800000, s0
	s_delay_alu instid0(VALU_DEP_4)
	v_add_nc_u64_e32 v[6:7], v[6:7], v[42:43]
	v_add_nc_u64_e32 v[22:23], s[38:39], v[4:5]
	s_mov_b32 s29, s1
	s_cvt_u32_f32 s18, s0
	s_cvt_u32_f32 s19, s19
	v_add_nc_u64_e32 v[8:9], s[38:39], v[8:9]
	s_mov_b64 s[2:3], 0
	v_lshl_add_u64 v[24:25], v[6:7], 3, s[38:39]
	s_mov_b32 s7, s1
	s_mov_b32 s8, s4
	;; [unrolled: 1-line block ×3, first 2 shown]
	s_sub_nc_u64 s[10:11], 0, s[28:29]
	v_add_nc_u64_e32 v[26:27], 12, v[8:9]
	s_lshl_b32 s6, s28, 3
	s_mov_b64 s[14:15], 0xffffffff
	s_mov_b64 s[16:17], 0x1fffffffffffffff
	s_sub_co_i32 s27, 0, s28
	s_mov_b32 s30, 0
	s_branch .LBB6_80
.LBB6_79:                               ;   in Loop: Header=BB6_80 Depth=1
	s_or_b32 exec_lo, exec_lo, s31
	v_add_nc_u64_e32 v[44:45], s[24:25], v[44:45]
	v_add_nc_u64_e32 v[28:29], s[24:25], v[28:29]
	;; [unrolled: 1-line block ×4, first 2 shown]
	s_add_nc_u64 s[2:3], s[2:3], 1
	s_delay_alu instid0(VALU_DEP_4) | instskip(SKIP_1) | instid1(SALU_CYCLE_1)
	v_cmp_le_i64_e32 vcc_lo, s[36:37], v[44:45]
	s_or_b32 s30, vcc_lo, s30
	s_and_not1_b32 exec_lo, exec_lo, s30
	s_cbranch_execz .LBB6_96
.LBB6_80:                               ; =>This Loop Header: Depth=1
                                        ;     Child Loop BB6_88 Depth 2
                                        ;     Child Loop BB6_95 Depth 2
	s_mov_b32 s31, exec_lo
	v_cmpx_ge_u64_e64 v[44:45], v[42:43]
	s_cbranch_execz .LBB6_79
; %bb.81:                               ;   in Loop: Header=BB6_80 Depth=1
	v_mad_nc_u64_u32 v[8:9], s2, s24, v[14:15]
	v_mov_b64_e32 v[6:7], v[18:19]
	s_mov_b32 s0, -1
	s_mov_b32 s33, exec_lo
	s_delay_alu instid0(VALU_DEP_2) | instskip(NEXT) | instid1(VALU_DEP_1)
	v_mad_u32 v9, s3, s24, v9
	v_max_u64 v[4:5], v[8:9], v[16:17]
	s_delay_alu instid0(VALU_DEP_1) | instskip(SKIP_1) | instid1(VALU_DEP_2)
	v_sub_nc_u64_e32 v[30:31], v[4:5], v[42:43]
	v_mov_b64_e32 v[4:5], v[42:43]
	v_cmpx_lt_u64_e32 3, v[30:31]
	s_cbranch_execz .LBB6_93
; %bb.82:                               ;   in Loop: Header=BB6_80 Depth=1
	v_max_u64 v[4:5], v[8:9], v[12:13]
	v_cmp_gt_u64_e32 vcc_lo, v[8:9], v[12:13]
                                        ; implicit-def: $vgpr8_vgpr9
	s_mov_b32 s0, exec_lo
	s_delay_alu instid0(VALU_DEP_2) | instskip(SKIP_2) | instid1(VALU_DEP_1)
	v_sub_nc_u64_e32 v[6:7], v[4:5], v[12:13]
	v_cndmask_b32_e64 v4, 0, 1, vcc_lo
	v_mov_b32_e32 v5, s1
	v_sub_nc_u64_e32 v[6:7], v[6:7], v[4:5]
	s_delay_alu instid0(VALU_DEP_1) | instskip(NEXT) | instid1(VALU_DEP_1)
	v_mov_b32_e32 v11, v7
	v_cmpx_ne_u64_e32 0, v[10:11]
	s_xor_b32 s34, exec_lo, s0
	s_cbranch_execz .LBB6_84
; %bb.83:                               ;   in Loop: Header=BB6_80 Depth=1
	s_mul_u64 s[38:39], s[10:11], s[18:19]
	s_delay_alu instid0(VALU_DEP_3)
	v_dual_mov_b32 v8, v6 :: v_dual_mov_b32 v9, v10
	s_mul_hi_u32 s41, s18, s39
	s_mul_i32 s40, s18, s39
	s_mul_hi_u32 s0, s18, s38
	s_mul_i32 s35, s19, s38
	s_add_nc_u64 s[40:41], s[0:1], s[40:41]
	s_mul_hi_u32 s0, s19, s38
	s_mul_hi_u32 s38, s19, s39
	s_add_co_u32 s35, s40, s35
	s_add_co_ci_u32 s0, s41, s0
	s_add_co_ci_u32 s41, s38, 0
	s_mul_i32 s40, s19, s39
	v_dual_mov_b32 v32, v7 :: v_dual_mov_b32 v33, v10
	s_add_nc_u64 s[38:39], s[0:1], s[40:41]
	v_mov_b32_e32 v37, v10
	s_add_co_u32 s38, s18, s38
	s_cselect_b32 s0, -1, 0
	s_delay_alu instid0(SALU_CYCLE_1) | instskip(SKIP_1) | instid1(SALU_CYCLE_1)
	s_cmp_lg_u32 s0, 0
	s_add_co_ci_u32 s39, s19, s39
	s_mul_u64 s[40:41], s[10:11], s[38:39]
	s_delay_alu instid0(SALU_CYCLE_1)
	s_mul_hi_u32 s43, s38, s41
	s_mul_i32 s42, s38, s41
	s_mul_hi_u32 s0, s38, s40
	s_mul_hi_u32 s35, s39, s40
	s_mul_i32 s40, s39, s40
	s_add_nc_u64 s[42:43], s[0:1], s[42:43]
	s_mul_hi_u32 s44, s39, s41
	s_add_co_u32 s0, s42, s40
	s_add_co_ci_u32 s0, s43, s35
	s_mul_i32 s40, s39, s41
	s_add_co_ci_u32 s41, s44, 0
	s_delay_alu instid0(SALU_CYCLE_1) | instskip(NEXT) | instid1(SALU_CYCLE_1)
	s_add_nc_u64 s[40:41], s[0:1], s[40:41]
	s_add_co_u32 s38, s38, s40
	s_cselect_b32 s0, -1, 0
	v_mul_hi_u32 v36, v6, s38
	s_cmp_lg_u32 s0, 0
	s_add_co_ci_u32 s0, s39, s41
	s_and_b64 s[40:41], s[38:39], s[14:15]
	v_mul_u64_e32 v[8:9], s[0:1], v[8:9]
	v_mul_u64_e32 v[34:35], s[40:41], v[32:33]
	;; [unrolled: 1-line block ×3, first 2 shown]
	s_delay_alu instid0(VALU_DEP_3) | instskip(NEXT) | instid1(VALU_DEP_1)
	v_add_nc_u64_e32 v[8:9], v[36:37], v[8:9]
	v_add_co_u32 v8, vcc_lo, v8, v34
	s_delay_alu instid0(VALU_DEP_2) | instskip(NEXT) | instid1(VALU_DEP_4)
	v_add_co_ci_u32_e32 v36, vcc_lo, v9, v35, vcc_lo
	v_add_co_ci_u32_e32 v33, vcc_lo, 0, v33, vcc_lo
	s_delay_alu instid0(VALU_DEP_1) | instskip(NEXT) | instid1(VALU_DEP_1)
	v_add_nc_u64_e32 v[8:9], v[36:37], v[32:33]
	v_mul_u64_e32 v[32:33], s[28:29], v[8:9]
	s_delay_alu instid0(VALU_DEP_1) | instskip(NEXT) | instid1(VALU_DEP_1)
	v_sub_co_u32 v11, vcc_lo, v6, v32
	v_sub_co_ci_u32_e64 v34, null, v7, v33, vcc_lo
	s_delay_alu instid0(VALU_DEP_2) | instskip(NEXT) | instid1(VALU_DEP_1)
	v_sub_co_u32 v6, vcc_lo, v11, s28
	v_subrev_co_ci_u32_e64 v32, null, 0, v34, vcc_lo
	v_cmp_eq_u32_e64 s0, 0, v34
	s_delay_alu instid0(VALU_DEP_3) | instskip(SKIP_3) | instid1(VALU_DEP_2)
	v_cmp_le_u32_e32 vcc_lo, s28, v6
	v_add_nc_u64_e32 v[6:7], 2, v[8:9]
	v_cndmask_b32_e64 v33, 0, -1, vcc_lo
	v_cmp_eq_u32_e32 vcc_lo, 0, v32
	v_cndmask_b32_e32 v35, -1, v33, vcc_lo
	v_cmp_le_u32_e32 vcc_lo, s28, v11
	v_add_nc_u64_e32 v[32:33], 1, v[8:9]
	v_cndmask_b32_e64 v11, 0, -1, vcc_lo
	s_delay_alu instid0(VALU_DEP_4) | instskip(NEXT) | instid1(VALU_DEP_2)
	v_cmp_ne_u32_e32 vcc_lo, 0, v35
	v_dual_cndmask_b32 v11, -1, v11, s0 :: v_dual_cndmask_b32 v6, v32, v6, vcc_lo
	s_delay_alu instid0(VALU_DEP_4) | instskip(NEXT) | instid1(VALU_DEP_2)
	v_cndmask_b32_e32 v7, v33, v7, vcc_lo
	v_cmp_ne_u32_e32 vcc_lo, 0, v11
	s_delay_alu instid0(VALU_DEP_2)
	v_dual_cndmask_b32 v8, v8, v6 :: v_dual_cndmask_b32 v9, v9, v7
                                        ; implicit-def: $vgpr6_vgpr7
.LBB6_84:                               ;   in Loop: Header=BB6_80 Depth=1
	s_and_not1_saveexec_b32 s0, s34
	s_cbranch_execz .LBB6_86
; %bb.85:                               ;   in Loop: Header=BB6_80 Depth=1
	v_cvt_f32_u32_e32 v7, s28
	s_delay_alu instid0(VALU_DEP_1) | instskip(SKIP_1) | instid1(TRANS32_DEP_1)
	v_rcp_iflag_f32_e32 v7, v7
	v_nop
	v_mul_f32_e32 v7, 0x4f7ffffe, v7
	s_delay_alu instid0(VALU_DEP_1) | instskip(NEXT) | instid1(VALU_DEP_1)
	v_cvt_u32_f32_e32 v7, v7
	v_mul_lo_u32 v8, s27, v7
	s_delay_alu instid0(VALU_DEP_1) | instskip(NEXT) | instid1(VALU_DEP_1)
	v_mul_hi_u32 v8, v7, v8
	v_add_nc_u32_e32 v7, v7, v8
	s_delay_alu instid0(VALU_DEP_1) | instskip(NEXT) | instid1(VALU_DEP_1)
	v_mul_hi_u32 v7, v6, v7
	v_mul_lo_u32 v8, v7, s28
	s_delay_alu instid0(VALU_DEP_1) | instskip(NEXT) | instid1(VALU_DEP_1)
	v_dual_sub_nc_u32 v6, v6, v8 :: v_dual_add_nc_u32 v8, 1, v7
	v_subrev_nc_u32_e32 v9, s28, v6
	v_cmp_le_u32_e32 vcc_lo, s28, v6
	s_delay_alu instid0(VALU_DEP_2) | instskip(NEXT) | instid1(VALU_DEP_4)
	v_cndmask_b32_e32 v6, v6, v9, vcc_lo
	v_dual_mov_b32 v9, v10 :: v_dual_cndmask_b32 v7, v7, v8, vcc_lo
	s_delay_alu instid0(VALU_DEP_2) | instskip(NEXT) | instid1(VALU_DEP_2)
	v_cmp_le_u32_e32 vcc_lo, s28, v6
	v_add_nc_u32_e32 v8, 1, v7
	s_delay_alu instid0(VALU_DEP_1)
	v_cndmask_b32_e32 v8, v7, v8, vcc_lo
.LBB6_86:                               ;   in Loop: Header=BB6_80 Depth=1
	s_or_b32 exec_lo, exec_lo, s0
	v_mad_nc_u64_u32 v[6:7], s12, s2, v[24:25]
	s_mul_i32 s0, s13, s2
	s_mul_i32 s34, s12, s3
	v_add_nc_u64_e32 v[4:5], v[8:9], v[4:5]
	s_delay_alu instid0(VALU_DEP_1) | instskip(NEXT) | instid1(VALU_DEP_3)
	v_cmp_lt_u64_e32 vcc_lo, s[16:17], v[4:5]
	v_add3_u32 v7, s34, s0, v7
	s_mov_b32 s34, -1
	s_delay_alu instid0(VALU_DEP_1) | instskip(SKIP_1) | instid1(VALU_DEP_2)
	v_lshl_add_u64 v[8:9], v[4:5], 3, v[6:7]
	v_mov_b64_e32 v[4:5], v[42:43]
	v_cmp_lt_u64_e64 s0, v[8:9], v[6:7]
	v_mov_b64_e32 v[6:7], v[18:19]
	s_or_b32 s0, s0, vcc_lo
	s_delay_alu instid0(SALU_CYCLE_1) | instskip(NEXT) | instid1(SALU_CYCLE_1)
	s_nor_b32 s35, s21, s0
	s_and_saveexec_b32 s0, s35
	s_cbranch_execz .LBB6_92
; %bb.87:                               ;   in Loop: Header=BB6_80 Depth=1
	v_max_u64 v[4:5], v[28:29], v[16:17]
	v_mov_b64_e32 v[8:9], v[2:3]
	v_mov_b64_e32 v[34:35], v[26:27]
	;; [unrolled: 1-line block ×3, first 2 shown]
	s_mov_b32 s34, 0
	s_delay_alu instid0(VALU_DEP_4) | instskip(NEXT) | instid1(VALU_DEP_1)
	v_add_nc_u64_e32 v[32:33], v[20:21], v[4:5]
	v_dual_mov_b32 v4, v44 :: v_dual_bitop2_b32 v32, -2, v32 bitop3:0x40
.LBB6_88:                               ;   Parent Loop BB6_80 Depth=1
                                        ; =>  This Inner Loop Header: Depth=2
	s_delay_alu instid0(VALU_DEP_3) | instskip(SKIP_1) | instid1(VALU_DEP_3)
	v_sub_nc_u64_e32 v[36:37], s[4:5], v[6:7]
	v_sub_nc_u64_e32 v[38:39], s[8:9], v[8:9]
	v_add_nc_u64_e32 v[32:33], -2, v[32:33]
	s_delay_alu instid0(VALU_DEP_3) | instskip(NEXT) | instid1(VALU_DEP_3)
	v_mul_u64_e32 v[36:37], v[36:37], v[6:7]
	v_mul_u64_e32 v[38:39], v[38:39], v[8:9]
	s_delay_alu instid0(VALU_DEP_3) | instskip(SKIP_1) | instid1(VALU_DEP_2)
	v_cmp_eq_u64_e32 vcc_lo, 0, v[32:33]
	s_or_b32 s34, vcc_lo, s34
	v_dual_lshrrev_b32 v5, 31, v37 :: v_dual_lshrrev_b32 v11, 31, v39
	v_sub_nc_u32_e32 v37, v44, v6
	v_add_nc_u64_e32 v[6:7], 2, v[6:7]
	s_delay_alu instid0(VALU_DEP_3) | instskip(NEXT) | instid1(VALU_DEP_1)
	v_dual_add_nc_u32 v11, v38, v11 :: v_dual_add_nc_u32 v5, v36, v5
	v_dual_lshrrev_b32 v11, 1, v11 :: v_dual_sub_nc_u32 v36, v4, v8
	s_delay_alu instid0(VALU_DEP_2) | instskip(SKIP_1) | instid1(VALU_DEP_2)
	v_lshrrev_b32_e32 v5, 1, v5
	v_add_nc_u64_e32 v[8:9], 2, v[8:9]
	v_dual_add_nc_u32 v11, v36, v11 :: v_dual_add_nc_u32 v5, v37, v5
	s_delay_alu instid0(VALU_DEP_1) | instskip(NEXT) | instid1(VALU_DEP_2)
	v_lshl_add_u32 v11, v11, 3, 0
	v_lshl_add_u32 v5, v5, 3, 0
	ds_load_2addr_b32 v[36:37], v5 offset1:1
	ds_load_2addr_b32 v[38:39], v11 offset1:1
	s_wait_dscnt 0x0
	v_dual_mov_b32 v40, v37 :: v_dual_mov_b32 v41, v39
	s_delay_alu instid0(VALU_DEP_1) | instskip(NEXT) | instid1(VALU_DEP_1)
	v_pk_add_f32 v[40:41], v[40:41], 0 neg_lo:[1,1] neg_hi:[1,1]
	v_dual_mov_b32 v37, v40 :: v_dual_mov_b32 v39, v41
	global_store_b128 v[34:35], v[36:39], off offset:-12
	s_wait_xcnt 0x0
	v_add_nc_u64_e32 v[34:35], 16, v[34:35]
	s_and_not1_b32 exec_lo, exec_lo, s34
	s_cbranch_execnz .LBB6_88
; %bb.89:                               ;   in Loop: Header=BB6_80 Depth=1
	s_or_b32 exec_lo, exec_lo, s34
	v_dual_mov_b32 v9, v31 :: v_dual_bitop2_b32 v8, -2, v30 bitop3:0x40
	s_mov_b32 s34, 0
	s_mov_b32 s35, exec_lo
                                        ; implicit-def: $vgpr4_vgpr5
                                        ; implicit-def: $vgpr6_vgpr7
	s_delay_alu instid0(VALU_DEP_1)
	v_cmpx_ne_u64_e64 v[30:31], v[8:9]
; %bb.90:                               ;   in Loop: Header=BB6_80 Depth=1
	v_add_nc_u64_e32 v[4:5], v[8:9], v[42:43]
	s_mov_b32 s34, exec_lo
	s_delay_alu instid0(VALU_DEP_1)
	v_lshlrev_b64_e32 v[6:7], 3, v[4:5]
; %bb.91:                               ;   in Loop: Header=BB6_80 Depth=1
	s_or_b32 exec_lo, exec_lo, s35
	s_delay_alu instid0(SALU_CYCLE_1)
	s_or_not1_b32 s34, s34, exec_lo
.LBB6_92:                               ;   in Loop: Header=BB6_80 Depth=1
	s_or_b32 exec_lo, exec_lo, s0
	s_delay_alu instid0(SALU_CYCLE_1)
	s_or_not1_b32 s0, s34, exec_lo
.LBB6_93:                               ;   in Loop: Header=BB6_80 Depth=1
	s_or_b32 exec_lo, exec_lo, s33
	s_delay_alu instid0(SALU_CYCLE_1)
	s_and_b32 exec_lo, exec_lo, s0
	s_cbranch_execz .LBB6_79
; %bb.94:                               ;   in Loop: Header=BB6_80 Depth=1
	s_delay_alu instid0(VALU_DEP_2)
	v_sub_nc_u64_e32 v[8:9], s[4:5], v[4:5]
	v_sub_nc_u32_e32 v11, v44, v4
	s_mov_b32 s0, 0
.LBB6_95:                               ;   Parent Loop BB6_80 Depth=1
                                        ; =>  This Inner Loop Header: Depth=2
	s_delay_alu instid0(VALU_DEP_2) | instskip(SKIP_4) | instid1(VALU_DEP_4)
	v_mul_u64_e32 v[30:31], v[8:9], v[4:5]
	v_add_nc_u64_e32 v[4:5], s[28:29], v[4:5]
	v_add_nc_u64_e32 v[32:33], v[22:23], v[6:7]
	v_sub_nc_u64_e64 v[8:9], v[8:9], s[28:29]
	v_add_nc_u64_e32 v[6:7], s[6:7], v[6:7]
	v_cmp_gt_u64_e32 vcc_lo, v[4:5], v[44:45]
	s_or_b32 s0, vcc_lo, s0
	v_lshrrev_b32_e32 v31, 31, v31
	s_delay_alu instid0(VALU_DEP_1) | instskip(NEXT) | instid1(VALU_DEP_1)
	v_add_nc_u32_e32 v30, v30, v31
	v_lshrrev_b32_e32 v30, 1, v30
	s_delay_alu instid0(VALU_DEP_1) | instskip(SKIP_1) | instid1(VALU_DEP_2)
	v_add_nc_u32_e32 v30, v11, v30
	v_subrev_nc_u32_e32 v11, s28, v11
	v_lshl_add_u32 v30, v30, 3, 0
	ds_load_2addr_b32 v[30:31], v30 offset1:1
	s_wait_dscnt 0x0
	v_xor_b32_e32 v31, 0x80000000, v31
	global_store_b64 v[32:33], v[30:31], off
	s_wait_xcnt 0x0
	s_and_not1_b32 exec_lo, exec_lo, s0
	s_cbranch_execnz .LBB6_95
	s_branch .LBB6_79
.LBB6_96:
	s_or_b32 exec_lo, exec_lo, s26
	s_mov_b32 s0, -1
.LBB6_97:
	s_delay_alu instid0(SALU_CYCLE_1) | instskip(NEXT) | instid1(SALU_CYCLE_1)
	s_and_saveexec_b32 s1, s0
	s_xor_b32 s0, exec_lo, s1
	s_cbranch_execz .LBB6_99
; %bb.98:
	s_wait_storecnt 0x0
	s_barrier_signal -1
	s_barrier_wait -1
.LBB6_99:
	s_or_b32 exec_lo, exec_lo, s0
	s_delay_alu instid0(SALU_CYCLE_1) | instskip(SKIP_1) | instid1(SALU_CYCLE_1)
	s_and_not1_b32 s0, s46, exec_lo
	s_and_b32 s1, s20, exec_lo
	s_or_b32 s46, s0, s1
.LBB6_100:
	s_or_b32 exec_lo, exec_lo, s47
	s_branch .LBB6_102
.LBB6_101:
	s_get_pc_i64 s[0:1]
	s_add_nc_u64 s[0:1], s[0:1], .str.4@rel64+4
	s_get_pc_i64 s[2:3]
	s_add_nc_u64 s[2:3], s[2:3], __PRETTY_FUNCTION__._ZN9rocsolver6v33100L18potf2_kernel_smallI19rocblas_complex_numIfEliPS3_EEvbT0_T2_lS5_lPT1_@rel64+4
	v_dual_mov_b32 v0, s0 :: v_dual_mov_b32 v1, s1
	v_dual_mov_b32 v2, 0x131 :: v_dual_mov_b32 v3, s2
	v_mov_b32_e32 v4, s3
	s_add_nc_u64 s[8:9], s[22:23], 56
	s_get_pc_i64 s[4:5]
	s_add_nc_u64 s[4:5], s[4:5], __assert_fail@rel64+4
	s_delay_alu instid0(SALU_CYCLE_1)
	s_swap_pc_i64 s[30:31], s[4:5]
	s_or_b32 s46, s46, exec_lo
.LBB6_102:
	s_branch .LBB6_104
.LBB6_103:
	s_get_pc_i64 s[0:1]
	s_add_nc_u64 s[0:1], s[0:1], .str.3@rel64+4
	s_get_pc_i64 s[2:3]
	s_add_nc_u64 s[2:3], s[2:3], __PRETTY_FUNCTION__._ZN9rocsolver6v33100L18potf2_kernel_smallI19rocblas_complex_numIfEliPS3_EEvbT0_T2_lS5_lPT1_@rel64+4
	v_dual_mov_b32 v0, s0 :: v_dual_mov_b32 v1, s1
	v_dual_mov_b32 v2, 0x12c :: v_dual_mov_b32 v3, s2
	v_mov_b32_e32 v4, s3
	s_add_nc_u64 s[8:9], s[22:23], 56
	s_get_pc_i64 s[4:5]
	s_add_nc_u64 s[4:5], s[4:5], __assert_fail@rel64+4
	s_delay_alu instid0(SALU_CYCLE_1)
	s_swap_pc_i64 s[30:31], s[4:5]
	s_or_b32 s46, s46, exec_lo
.LBB6_104:
	s_branch .LBB6_106
.LBB6_105:
	s_get_pc_i64 s[0:1]
	s_add_nc_u64 s[0:1], s[0:1], .str.2@rel64+4
	s_get_pc_i64 s[2:3]
	s_add_nc_u64 s[2:3], s[2:3], __PRETTY_FUNCTION__._ZN9rocsolver6v33100L18potf2_kernel_smallI19rocblas_complex_numIfEliPS3_EEvbT0_T2_lS5_lPT1_@rel64+4
	v_dual_mov_b32 v0, s0 :: v_dual_mov_b32 v1, s1
	v_dual_mov_b32 v2, 0x12b :: v_dual_mov_b32 v3, s2
	v_mov_b32_e32 v4, s3
	s_add_nc_u64 s[8:9], s[22:23], 56
	s_get_pc_i64 s[4:5]
	s_add_nc_u64 s[4:5], s[4:5], __assert_fail@rel64+4
	s_delay_alu instid0(SALU_CYCLE_1)
	s_swap_pc_i64 s[30:31], s[4:5]
	s_or_b32 s46, s46, exec_lo
.LBB6_106:
	s_delay_alu instid0(SALU_CYCLE_1)
	s_and_saveexec_b32 s0, s46
; %bb.107:
	; divergent unreachable
; %bb.108:
	s_endpgm
	.section	.rodata,"a",@progbits
	.p2align	6, 0x0
	.amdhsa_kernel _ZN9rocsolver6v33100L18potf2_kernel_smallI19rocblas_complex_numIfEliPS3_EEvbT0_T2_lS5_lPT1_
		.amdhsa_group_segment_fixed_size 0
		.amdhsa_private_segment_fixed_size 64
		.amdhsa_kernarg_size 312
		.amdhsa_user_sgpr_count 2
		.amdhsa_user_sgpr_dispatch_ptr 0
		.amdhsa_user_sgpr_queue_ptr 0
		.amdhsa_user_sgpr_kernarg_segment_ptr 1
		.amdhsa_user_sgpr_dispatch_id 0
		.amdhsa_user_sgpr_kernarg_preload_length 0
		.amdhsa_user_sgpr_kernarg_preload_offset 0
		.amdhsa_user_sgpr_private_segment_size 0
		.amdhsa_wavefront_size32 1
		.amdhsa_uses_dynamic_stack 0
		.amdhsa_enable_private_segment 1
		.amdhsa_system_sgpr_workgroup_id_x 1
		.amdhsa_system_sgpr_workgroup_id_y 0
		.amdhsa_system_sgpr_workgroup_id_z 1
		.amdhsa_system_sgpr_workgroup_info 0
		.amdhsa_system_vgpr_workitem_id 2
		.amdhsa_next_free_vgpr 53
		.amdhsa_next_free_sgpr 49
		.amdhsa_named_barrier_count 0
		.amdhsa_reserve_vcc 1
		.amdhsa_float_round_mode_32 0
		.amdhsa_float_round_mode_16_64 0
		.amdhsa_float_denorm_mode_32 3
		.amdhsa_float_denorm_mode_16_64 3
		.amdhsa_fp16_overflow 0
		.amdhsa_memory_ordered 1
		.amdhsa_forward_progress 1
		.amdhsa_inst_pref_size 41
		.amdhsa_round_robin_scheduling 0
		.amdhsa_exception_fp_ieee_invalid_op 0
		.amdhsa_exception_fp_denorm_src 0
		.amdhsa_exception_fp_ieee_div_zero 0
		.amdhsa_exception_fp_ieee_overflow 0
		.amdhsa_exception_fp_ieee_underflow 0
		.amdhsa_exception_fp_ieee_inexact 0
		.amdhsa_exception_int_div_zero 0
	.end_amdhsa_kernel
	.section	.text._ZN9rocsolver6v33100L18potf2_kernel_smallI19rocblas_complex_numIfEliPS3_EEvbT0_T2_lS5_lPT1_,"axG",@progbits,_ZN9rocsolver6v33100L18potf2_kernel_smallI19rocblas_complex_numIfEliPS3_EEvbT0_T2_lS5_lPT1_,comdat
.Lfunc_end6:
	.size	_ZN9rocsolver6v33100L18potf2_kernel_smallI19rocblas_complex_numIfEliPS3_EEvbT0_T2_lS5_lPT1_, .Lfunc_end6-_ZN9rocsolver6v33100L18potf2_kernel_smallI19rocblas_complex_numIfEliPS3_EEvbT0_T2_lS5_lPT1_
                                        ; -- End function
	.set _ZN9rocsolver6v33100L18potf2_kernel_smallI19rocblas_complex_numIfEliPS3_EEvbT0_T2_lS5_lPT1_.num_vgpr, max(46, .L__assert_fail.num_vgpr)
	.set _ZN9rocsolver6v33100L18potf2_kernel_smallI19rocblas_complex_numIfEliPS3_EEvbT0_T2_lS5_lPT1_.num_agpr, max(0, .L__assert_fail.num_agpr)
	.set _ZN9rocsolver6v33100L18potf2_kernel_smallI19rocblas_complex_numIfEliPS3_EEvbT0_T2_lS5_lPT1_.numbered_sgpr, max(49, .L__assert_fail.numbered_sgpr)
	.set _ZN9rocsolver6v33100L18potf2_kernel_smallI19rocblas_complex_numIfEliPS3_EEvbT0_T2_lS5_lPT1_.num_named_barrier, max(0, .L__assert_fail.num_named_barrier)
	.set _ZN9rocsolver6v33100L18potf2_kernel_smallI19rocblas_complex_numIfEliPS3_EEvbT0_T2_lS5_lPT1_.private_seg_size, 0+max(.L__assert_fail.private_seg_size)
	.set _ZN9rocsolver6v33100L18potf2_kernel_smallI19rocblas_complex_numIfEliPS3_EEvbT0_T2_lS5_lPT1_.uses_vcc, or(1, .L__assert_fail.uses_vcc)
	.set _ZN9rocsolver6v33100L18potf2_kernel_smallI19rocblas_complex_numIfEliPS3_EEvbT0_T2_lS5_lPT1_.uses_flat_scratch, or(0, .L__assert_fail.uses_flat_scratch)
	.set _ZN9rocsolver6v33100L18potf2_kernel_smallI19rocblas_complex_numIfEliPS3_EEvbT0_T2_lS5_lPT1_.has_dyn_sized_stack, or(0, .L__assert_fail.has_dyn_sized_stack)
	.set _ZN9rocsolver6v33100L18potf2_kernel_smallI19rocblas_complex_numIfEliPS3_EEvbT0_T2_lS5_lPT1_.has_recursion, or(0, .L__assert_fail.has_recursion)
	.set _ZN9rocsolver6v33100L18potf2_kernel_smallI19rocblas_complex_numIfEliPS3_EEvbT0_T2_lS5_lPT1_.has_indirect_call, or(0, .L__assert_fail.has_indirect_call)
	.section	.AMDGPU.csdata,"",@progbits
; Kernel info:
; codeLenInByte = 5192
; TotalNumSgprs: 51
; NumVgprs: 53
; ScratchSize: 64
; MemoryBound: 0
; FloatMode: 240
; IeeeMode: 1
; LDSByteSize: 0 bytes/workgroup (compile time only)
; SGPRBlocks: 0
; VGPRBlocks: 3
; NumSGPRsForWavesPerEU: 51
; NumVGPRsForWavesPerEU: 53
; NamedBarCnt: 0
; Occupancy: 16
; WaveLimiterHint : 1
; COMPUTE_PGM_RSRC2:SCRATCH_EN: 1
; COMPUTE_PGM_RSRC2:USER_SGPR: 2
; COMPUTE_PGM_RSRC2:TRAP_HANDLER: 0
; COMPUTE_PGM_RSRC2:TGID_X_EN: 1
; COMPUTE_PGM_RSRC2:TGID_Y_EN: 0
; COMPUTE_PGM_RSRC2:TGID_Z_EN: 1
; COMPUTE_PGM_RSRC2:TIDIG_COMP_CNT: 2
	.text
	.p2alignl 7, 3214868480
	.fill 96, 4, 3214868480
	.section	.AMDGPU.gpr_maximums,"",@progbits
	.set amdgpu.max_num_vgpr, 53
	.set amdgpu.max_num_agpr, 0
	.set amdgpu.max_num_sgpr, 34
	.text
	.type	__const.__assert_fail.fmt,@object ; @__const.__assert_fail.fmt
	.section	.rodata.str1.16,"aMS",@progbits,1
	.p2align	4, 0x0
__const.__assert_fail.fmt:
	.asciz	"%s:%u: %s: Device-side assertion `%s' failed.\n"
	.size	__const.__assert_fail.fmt, 47

	.type	.str,@object                    ; @.str
	.section	.rodata.str1.1,"aMS",@progbits,1
.str:
	.asciz	"hipBlockDim_z == 1"
	.size	.str, 19

	.type	.str.1,@object                  ; @.str.1
.str.1:
	.asciz	"/root/src/amdgpu-assembly/repos/ROCm__rocSOLVER/library/src/specialized/roclapack_potf2_specialized_kernels.hpp"
	.size	.str.1, 112

	.type	__PRETTY_FUNCTION__._ZN9rocsolver6v33100L18potf2_kernel_smallI19rocblas_complex_numIfEiiPS3_EEvbT0_T2_lS5_lPT1_,@object ; @__PRETTY_FUNCTION__._ZN9rocsolver6v33100L18potf2_kernel_smallI19rocblas_complex_numIfEiiPS3_EEvbT0_T2_lS5_lPT1_
__PRETTY_FUNCTION__._ZN9rocsolver6v33100L18potf2_kernel_smallI19rocblas_complex_numIfEiiPS3_EEvbT0_T2_lS5_lPT1_:
	.asciz	"void rocsolver::potf2_kernel_small(const bool, const I, U, const rocblas_stride, const I, const rocblas_stride, INFO *const) [T = rocblas_complex_num<float>, I = int, INFO = int, U = rocblas_complex_num<float> *]"
	.size	__PRETTY_FUNCTION__._ZN9rocsolver6v33100L18potf2_kernel_smallI19rocblas_complex_numIfEiiPS3_EEvbT0_T2_lS5_lPT1_, 213

	.type	.str.2,@object                  ; @.str.2
.str.2:
	.asciz	"AA != nullptr"
	.size	.str.2, 14

	.type	.str.3,@object                  ; @.str.3
.str.3:
	.asciz	"info != nullptr"
	.size	.str.3, 16

	.type	.str.4,@object                  ; @.str.4
.str.4:
	.asciz	"A != nullptr"
	.size	.str.4, 13

	.type	.str.8,@object                  ; @.str.8
.str.8:
	.asciz	"(0 <= i) && (i <= (n - 1))"
	.size	.str.8, 27

	.type	__PRETTY_FUNCTION__._ZN9rocsolver6v33100L9idx_lowerIiEET_S2_S2_S2_,@object ; @__PRETTY_FUNCTION__._ZN9rocsolver6v33100L9idx_lowerIiEET_S2_S2_S2_
__PRETTY_FUNCTION__._ZN9rocsolver6v33100L9idx_lowerIiEET_S2_S2_S2_:
	.asciz	"I rocsolver::idx_lower(I, I, I) [I = int]"
	.size	__PRETTY_FUNCTION__._ZN9rocsolver6v33100L9idx_lowerIiEET_S2_S2_S2_, 42

	.type	.str.9,@object                  ; @.str.9
.str.9:
	.asciz	"(0 <= j) && (j <= (n - 1))"
	.size	.str.9, 27

	.type	.str.10,@object                 ; @.str.10
.str.10:
	.asciz	"i >= j"
	.size	.str.10, 7

	.type	__PRETTY_FUNCTION__._ZN9rocsolver6v33100L18potf2_kernel_smallI19rocblas_complex_numIfEiiPKPS3_EEvbT0_T2_lS7_lPT1_,@object ; @__PRETTY_FUNCTION__._ZN9rocsolver6v33100L18potf2_kernel_smallI19rocblas_complex_numIfEiiPKPS3_EEvbT0_T2_lS7_lPT1_
__PRETTY_FUNCTION__._ZN9rocsolver6v33100L18potf2_kernel_smallI19rocblas_complex_numIfEiiPKPS3_EEvbT0_T2_lS7_lPT1_:
	.asciz	"void rocsolver::potf2_kernel_small(const bool, const I, U, const rocblas_stride, const I, const rocblas_stride, INFO *const) [T = rocblas_complex_num<float>, I = int, INFO = int, U = rocblas_complex_num<float> *const *]"
	.size	__PRETTY_FUNCTION__._ZN9rocsolver6v33100L18potf2_kernel_smallI19rocblas_complex_numIfEiiPKPS3_EEvbT0_T2_lS7_lPT1_, 220

	.type	__PRETTY_FUNCTION__._ZN9rocsolver6v33100L18potf2_kernel_smallI19rocblas_complex_numIfEllPS3_EEvbT0_T2_lS5_lPT1_,@object ; @__PRETTY_FUNCTION__._ZN9rocsolver6v33100L18potf2_kernel_smallI19rocblas_complex_numIfEllPS3_EEvbT0_T2_lS5_lPT1_
__PRETTY_FUNCTION__._ZN9rocsolver6v33100L18potf2_kernel_smallI19rocblas_complex_numIfEllPS3_EEvbT0_T2_lS5_lPT1_:
	.asciz	"void rocsolver::potf2_kernel_small(const bool, const I, U, const rocblas_stride, const I, const rocblas_stride, INFO *const) [T = rocblas_complex_num<float>, I = long, INFO = long, U = rocblas_complex_num<float> *]"
	.size	__PRETTY_FUNCTION__._ZN9rocsolver6v33100L18potf2_kernel_smallI19rocblas_complex_numIfEllPS3_EEvbT0_T2_lS5_lPT1_, 215

	.type	__PRETTY_FUNCTION__._ZN9rocsolver6v33100L9idx_lowerIlEET_S2_S2_S2_,@object ; @__PRETTY_FUNCTION__._ZN9rocsolver6v33100L9idx_lowerIlEET_S2_S2_S2_
__PRETTY_FUNCTION__._ZN9rocsolver6v33100L9idx_lowerIlEET_S2_S2_S2_:
	.asciz	"I rocsolver::idx_lower(I, I, I) [I = long]"
	.size	__PRETTY_FUNCTION__._ZN9rocsolver6v33100L9idx_lowerIlEET_S2_S2_S2_, 43

	.type	__PRETTY_FUNCTION__._ZN9rocsolver6v33100L18potf2_kernel_smallI19rocblas_complex_numIfEllPKPS3_EEvbT0_T2_lS7_lPT1_,@object ; @__PRETTY_FUNCTION__._ZN9rocsolver6v33100L18potf2_kernel_smallI19rocblas_complex_numIfEllPKPS3_EEvbT0_T2_lS7_lPT1_
__PRETTY_FUNCTION__._ZN9rocsolver6v33100L18potf2_kernel_smallI19rocblas_complex_numIfEllPKPS3_EEvbT0_T2_lS7_lPT1_:
	.asciz	"void rocsolver::potf2_kernel_small(const bool, const I, U, const rocblas_stride, const I, const rocblas_stride, INFO *const) [T = rocblas_complex_num<float>, I = long, INFO = long, U = rocblas_complex_num<float> *const *]"
	.size	__PRETTY_FUNCTION__._ZN9rocsolver6v33100L18potf2_kernel_smallI19rocblas_complex_numIfEllPKPS3_EEvbT0_T2_lS7_lPT1_, 222

	.type	__PRETTY_FUNCTION__._ZN9rocsolver6v33100L18potf2_kernel_smallI19rocblas_complex_numIfEliPS3_EEvbT0_T2_lS5_lPT1_,@object ; @__PRETTY_FUNCTION__._ZN9rocsolver6v33100L18potf2_kernel_smallI19rocblas_complex_numIfEliPS3_EEvbT0_T2_lS5_lPT1_
__PRETTY_FUNCTION__._ZN9rocsolver6v33100L18potf2_kernel_smallI19rocblas_complex_numIfEliPS3_EEvbT0_T2_lS5_lPT1_:
	.asciz	"void rocsolver::potf2_kernel_small(const bool, const I, U, const rocblas_stride, const I, const rocblas_stride, INFO *const) [T = rocblas_complex_num<float>, I = long, INFO = int, U = rocblas_complex_num<float> *]"
	.size	__PRETTY_FUNCTION__._ZN9rocsolver6v33100L18potf2_kernel_smallI19rocblas_complex_numIfEliPS3_EEvbT0_T2_lS5_lPT1_, 214

	.type	__hip_cuid_46e115b641c02d38,@object ; @__hip_cuid_46e115b641c02d38
	.section	.bss,"aw",@nobits
	.globl	__hip_cuid_46e115b641c02d38
__hip_cuid_46e115b641c02d38:
	.byte	0                               ; 0x0
	.size	__hip_cuid_46e115b641c02d38, 1

	.ident	"AMD clang version 22.0.0git (https://github.com/RadeonOpenCompute/llvm-project roc-7.2.4 26084 f58b06dce1f9c15707c5f808fd002e18c2accf7e)"
	.section	".note.GNU-stack","",@progbits
	.addrsig
	.addrsig_sym __hip_cuid_46e115b641c02d38
	.amdgpu_metadata
---
amdhsa.kernels:
  - .args:
      - .offset:         0
        .size:           1
        .value_kind:     by_value
      - .offset:         4
        .size:           4
        .value_kind:     by_value
      - .address_space:  global
        .offset:         8
        .size:           8
        .value_kind:     global_buffer
      - .offset:         16
        .size:           8
        .value_kind:     by_value
      - .offset:         24
        .size:           4
        .value_kind:     by_value
      - .offset:         32
        .size:           8
        .value_kind:     by_value
      - .address_space:  global
        .offset:         40
        .size:           8
        .value_kind:     global_buffer
      - .offset:         48
        .size:           4
        .value_kind:     hidden_block_count_x
      - .offset:         52
        .size:           4
        .value_kind:     hidden_block_count_y
      - .offset:         56
        .size:           4
        .value_kind:     hidden_block_count_z
      - .offset:         60
        .size:           2
        .value_kind:     hidden_group_size_x
      - .offset:         62
        .size:           2
        .value_kind:     hidden_group_size_y
      - .offset:         64
        .size:           2
        .value_kind:     hidden_group_size_z
      - .offset:         66
        .size:           2
        .value_kind:     hidden_remainder_x
      - .offset:         68
        .size:           2
        .value_kind:     hidden_remainder_y
      - .offset:         70
        .size:           2
        .value_kind:     hidden_remainder_z
      - .offset:         88
        .size:           8
        .value_kind:     hidden_global_offset_x
      - .offset:         96
        .size:           8
        .value_kind:     hidden_global_offset_y
      - .offset:         104
        .size:           8
        .value_kind:     hidden_global_offset_z
      - .offset:         112
        .size:           2
        .value_kind:     hidden_grid_dims
      - .offset:         128
        .size:           8
        .value_kind:     hidden_hostcall_buffer
      - .offset:         168
        .size:           4
        .value_kind:     hidden_dynamic_lds_size
    .group_segment_fixed_size: 0
    .kernarg_segment_align: 8
    .kernarg_segment_size: 304
    .language:       OpenCL C
    .language_version:
      - 2
      - 0
    .max_flat_workgroup_size: 1024
    .name:           _ZN9rocsolver6v33100L18potf2_kernel_smallI19rocblas_complex_numIfEiiPS3_EEvbT0_T2_lS5_lPT1_
    .private_segment_fixed_size: 64
    .sgpr_count:     54
    .sgpr_spill_count: 0
    .symbol:         _ZN9rocsolver6v33100L18potf2_kernel_smallI19rocblas_complex_numIfEiiPS3_EEvbT0_T2_lS5_lPT1_.kd
    .uniform_work_group_size: 1
    .uses_dynamic_stack: false
    .vgpr_count:     53
    .vgpr_spill_count: 0
    .wavefront_size: 32
  - .args:
      - .offset:         0
        .size:           1
        .value_kind:     by_value
      - .offset:         4
        .size:           4
        .value_kind:     by_value
      - .address_space:  global
        .offset:         8
        .size:           8
        .value_kind:     global_buffer
      - .offset:         16
        .size:           8
        .value_kind:     by_value
      - .offset:         24
        .size:           4
        .value_kind:     by_value
      - .offset:         32
        .size:           8
        .value_kind:     by_value
      - .address_space:  global
        .offset:         40
        .size:           8
        .value_kind:     global_buffer
      - .offset:         48
        .size:           4
        .value_kind:     hidden_block_count_x
      - .offset:         52
        .size:           4
        .value_kind:     hidden_block_count_y
      - .offset:         56
        .size:           4
        .value_kind:     hidden_block_count_z
      - .offset:         60
        .size:           2
        .value_kind:     hidden_group_size_x
      - .offset:         62
        .size:           2
        .value_kind:     hidden_group_size_y
      - .offset:         64
        .size:           2
        .value_kind:     hidden_group_size_z
      - .offset:         66
        .size:           2
        .value_kind:     hidden_remainder_x
      - .offset:         68
        .size:           2
        .value_kind:     hidden_remainder_y
      - .offset:         70
        .size:           2
        .value_kind:     hidden_remainder_z
      - .offset:         88
        .size:           8
        .value_kind:     hidden_global_offset_x
      - .offset:         96
        .size:           8
        .value_kind:     hidden_global_offset_y
      - .offset:         104
        .size:           8
        .value_kind:     hidden_global_offset_z
      - .offset:         112
        .size:           2
        .value_kind:     hidden_grid_dims
      - .offset:         128
        .size:           8
        .value_kind:     hidden_hostcall_buffer
      - .offset:         168
        .size:           4
        .value_kind:     hidden_dynamic_lds_size
    .group_segment_fixed_size: 0
    .kernarg_segment_align: 8
    .kernarg_segment_size: 304
    .language:       OpenCL C
    .language_version:
      - 2
      - 0
    .max_flat_workgroup_size: 1024
    .name:           _ZN9rocsolver6v33100L18potf2_kernel_smallI19rocblas_complex_numIfEiiPKPS3_EEvbT0_T2_lS7_lPT1_
    .private_segment_fixed_size: 64
    .sgpr_count:     47
    .sgpr_spill_count: 0
    .symbol:         _ZN9rocsolver6v33100L18potf2_kernel_smallI19rocblas_complex_numIfEiiPKPS3_EEvbT0_T2_lS7_lPT1_.kd
    .uniform_work_group_size: 1
    .uses_dynamic_stack: false
    .vgpr_count:     53
    .vgpr_spill_count: 0
    .wavefront_size: 32
  - .args:
      - .offset:         0
        .size:           1
        .value_kind:     by_value
      - .offset:         8
        .size:           8
        .value_kind:     by_value
      - .address_space:  global
        .offset:         16
        .size:           8
        .value_kind:     global_buffer
      - .offset:         24
        .size:           8
        .value_kind:     by_value
      - .offset:         32
        .size:           8
        .value_kind:     by_value
      - .offset:         40
        .size:           8
        .value_kind:     by_value
      - .address_space:  global
        .offset:         48
        .size:           8
        .value_kind:     global_buffer
      - .offset:         56
        .size:           4
        .value_kind:     hidden_block_count_x
      - .offset:         60
        .size:           4
        .value_kind:     hidden_block_count_y
      - .offset:         64
        .size:           4
        .value_kind:     hidden_block_count_z
      - .offset:         68
        .size:           2
        .value_kind:     hidden_group_size_x
      - .offset:         70
        .size:           2
        .value_kind:     hidden_group_size_y
      - .offset:         72
        .size:           2
        .value_kind:     hidden_group_size_z
      - .offset:         74
        .size:           2
        .value_kind:     hidden_remainder_x
      - .offset:         76
        .size:           2
        .value_kind:     hidden_remainder_y
      - .offset:         78
        .size:           2
        .value_kind:     hidden_remainder_z
      - .offset:         96
        .size:           8
        .value_kind:     hidden_global_offset_x
      - .offset:         104
        .size:           8
        .value_kind:     hidden_global_offset_y
      - .offset:         112
        .size:           8
        .value_kind:     hidden_global_offset_z
      - .offset:         120
        .size:           2
        .value_kind:     hidden_grid_dims
      - .offset:         136
        .size:           8
        .value_kind:     hidden_hostcall_buffer
      - .offset:         176
        .size:           4
        .value_kind:     hidden_dynamic_lds_size
    .group_segment_fixed_size: 0
    .kernarg_segment_align: 8
    .kernarg_segment_size: 312
    .language:       OpenCL C
    .language_version:
      - 2
      - 0
    .max_flat_workgroup_size: 1024
    .name:           _ZN9rocsolver6v33100L18potf2_kernel_smallI19rocblas_complex_numIfEllPS3_EEvbT0_T2_lS5_lPT1_
    .private_segment_fixed_size: 64
    .sgpr_count:     51
    .sgpr_spill_count: 0
    .symbol:         _ZN9rocsolver6v33100L18potf2_kernel_smallI19rocblas_complex_numIfEllPS3_EEvbT0_T2_lS5_lPT1_.kd
    .uniform_work_group_size: 1
    .uses_dynamic_stack: false
    .vgpr_count:     53
    .vgpr_spill_count: 0
    .wavefront_size: 32
  - .args:
      - .offset:         0
        .size:           1
        .value_kind:     by_value
      - .offset:         8
        .size:           8
        .value_kind:     by_value
      - .address_space:  global
        .offset:         16
        .size:           8
        .value_kind:     global_buffer
      - .offset:         24
        .size:           8
        .value_kind:     by_value
      - .offset:         32
        .size:           8
        .value_kind:     by_value
      - .offset:         40
        .size:           8
        .value_kind:     by_value
      - .address_space:  global
        .offset:         48
        .size:           8
        .value_kind:     global_buffer
      - .offset:         56
        .size:           4
        .value_kind:     hidden_block_count_x
      - .offset:         60
        .size:           4
        .value_kind:     hidden_block_count_y
      - .offset:         64
        .size:           4
        .value_kind:     hidden_block_count_z
      - .offset:         68
        .size:           2
        .value_kind:     hidden_group_size_x
      - .offset:         70
        .size:           2
        .value_kind:     hidden_group_size_y
      - .offset:         72
        .size:           2
        .value_kind:     hidden_group_size_z
      - .offset:         74
        .size:           2
        .value_kind:     hidden_remainder_x
      - .offset:         76
        .size:           2
        .value_kind:     hidden_remainder_y
      - .offset:         78
        .size:           2
        .value_kind:     hidden_remainder_z
      - .offset:         96
        .size:           8
        .value_kind:     hidden_global_offset_x
      - .offset:         104
        .size:           8
        .value_kind:     hidden_global_offset_y
      - .offset:         112
        .size:           8
        .value_kind:     hidden_global_offset_z
      - .offset:         120
        .size:           2
        .value_kind:     hidden_grid_dims
      - .offset:         136
        .size:           8
        .value_kind:     hidden_hostcall_buffer
      - .offset:         176
        .size:           4
        .value_kind:     hidden_dynamic_lds_size
    .group_segment_fixed_size: 0
    .kernarg_segment_align: 8
    .kernarg_segment_size: 312
    .language:       OpenCL C
    .language_version:
      - 2
      - 0
    .max_flat_workgroup_size: 1024
    .name:           _ZN9rocsolver6v33100L18potf2_kernel_smallI19rocblas_complex_numIfEllPKPS3_EEvbT0_T2_lS7_lPT1_
    .private_segment_fixed_size: 64
    .sgpr_count:     47
    .sgpr_spill_count: 0
    .symbol:         _ZN9rocsolver6v33100L18potf2_kernel_smallI19rocblas_complex_numIfEllPKPS3_EEvbT0_T2_lS7_lPT1_.kd
    .uniform_work_group_size: 1
    .uses_dynamic_stack: false
    .vgpr_count:     53
    .vgpr_spill_count: 0
    .wavefront_size: 32
  - .args:
      - .offset:         0
        .size:           1
        .value_kind:     by_value
      - .offset:         8
        .size:           8
        .value_kind:     by_value
      - .address_space:  global
        .offset:         16
        .size:           8
        .value_kind:     global_buffer
      - .offset:         24
        .size:           8
        .value_kind:     by_value
      - .offset:         32
        .size:           8
        .value_kind:     by_value
      - .offset:         40
        .size:           8
        .value_kind:     by_value
      - .address_space:  global
        .offset:         48
        .size:           8
        .value_kind:     global_buffer
      - .offset:         56
        .size:           4
        .value_kind:     hidden_block_count_x
      - .offset:         60
        .size:           4
        .value_kind:     hidden_block_count_y
      - .offset:         64
        .size:           4
        .value_kind:     hidden_block_count_z
      - .offset:         68
        .size:           2
        .value_kind:     hidden_group_size_x
      - .offset:         70
        .size:           2
        .value_kind:     hidden_group_size_y
      - .offset:         72
        .size:           2
        .value_kind:     hidden_group_size_z
      - .offset:         74
        .size:           2
        .value_kind:     hidden_remainder_x
      - .offset:         76
        .size:           2
        .value_kind:     hidden_remainder_y
      - .offset:         78
        .size:           2
        .value_kind:     hidden_remainder_z
      - .offset:         96
        .size:           8
        .value_kind:     hidden_global_offset_x
      - .offset:         104
        .size:           8
        .value_kind:     hidden_global_offset_y
      - .offset:         112
        .size:           8
        .value_kind:     hidden_global_offset_z
      - .offset:         120
        .size:           2
        .value_kind:     hidden_grid_dims
      - .offset:         136
        .size:           8
        .value_kind:     hidden_hostcall_buffer
      - .offset:         176
        .size:           4
        .value_kind:     hidden_dynamic_lds_size
    .group_segment_fixed_size: 0
    .kernarg_segment_align: 8
    .kernarg_segment_size: 312
    .language:       OpenCL C
    .language_version:
      - 2
      - 0
    .max_flat_workgroup_size: 1024
    .name:           _ZN9rocsolver6v33100L18potf2_kernel_smallI19rocblas_complex_numIfEliPS3_EEvbT0_T2_lS5_lPT1_
    .private_segment_fixed_size: 64
    .sgpr_count:     51
    .sgpr_spill_count: 0
    .symbol:         _ZN9rocsolver6v33100L18potf2_kernel_smallI19rocblas_complex_numIfEliPS3_EEvbT0_T2_lS5_lPT1_.kd
    .uniform_work_group_size: 1
    .uses_dynamic_stack: false
    .vgpr_count:     53
    .vgpr_spill_count: 0
    .wavefront_size: 32
amdhsa.target:   amdgcn-amd-amdhsa--gfx1250
amdhsa.version:
  - 1
  - 2
...

	.end_amdgpu_metadata
